;; amdgpu-corpus repo=ROCm/rocm-libraries kind=compiled arch=gfx90a opt=O3
	.text
	.amdgcn_target "amdgcn-amd-amdhsa--gfx90a"
	.amdhsa_code_object_version 6
	.protected	batched_transpose_16x16_dword ; -- Begin function batched_transpose_16x16_dword
	.globl	batched_transpose_16x16_dword
	.p2align	8
	.type	batched_transpose_16x16_dword,@function
batched_transpose_16x16_dword:          ; @batched_transpose_16x16_dword
; %bb.0:
	s_load_dwordx8 s[8:15], s[4:5], 0x10
	s_waitcnt lgkmcnt(0)
	s_cmp_ge_u32 s6, s11
	s_cbranch_scc1 .LBB0_7
; %bb.1:
	s_load_dwordx4 s[16:19], s[4:5], 0x0
	s_add_i32 s0, s8, 15
	v_lshrrev_b32_e32 v5, 4, v0
	s_lshr_b32 s2, s0, 4
	s_add_i32 s0, s9, 15
	v_and_b32_e32 v4, 15, v0
	v_mul_u32_u24_e32 v0, 17, v5
	v_add_lshl_u32 v6, v0, v4, 2
	v_mul_u32_u24_e32 v0, 17, v4
	s_and_b32 s0, s0, -16
	s_mov_b32 s3, s9
	v_add_lshl_u32 v7, v0, v5, 2
	s_sub_i32 s4, 0, s0
	s_lshl_b32 s5, s6, 4
	s_lshl_b32 s7, s10, 4
	v_mov_b32_e32 v1, 0
	s_branch .LBB0_3
.LBB0_2:                                ;   in Loop: Header=BB0_3 Depth=1
	s_or_b64 exec, exec, s[0:1]
	s_add_i32 s6, s6, s10
	s_add_i32 s5, s5, s7
	s_cmp_lt_u32 s6, s11
	s_cbranch_scc0 .LBB0_7
.LBB0_3:                                ; =>This Inner Loop Header: Depth=1
	s_mul_hi_u32 s0, s14, s6
	s_add_i32 s0, s6, s0
	s_lshr_b32 s0, s0, s15
	s_mul_hi_u32 s1, s0, s12
	s_add_i32 s1, s0, s1
	s_lshr_b32 s20, s1, s13
	s_mul_i32 s1, s20, s2
	s_sub_i32 s1, s0, s1
	s_mul_i32 s21, s4, s0
	s_add_i32 s21, s21, s5
	s_lshl_b32 s22, s1, 4
	v_add_u32_e32 v2, s21, v4
	v_or_b32_e32 v0, s22, v5
	v_cmp_gt_u32_e32 vcc, s8, v0
	v_cmp_gt_u32_e64 s[0:1], s9, v2
	s_and_b64 s[24:25], vcc, s[0:1]
	s_waitcnt lgkmcnt(0)
	s_barrier
	s_and_saveexec_b64 s[0:1], s[24:25]
	s_cbranch_execz .LBB0_5
; %bb.4:                                ;   in Loop: Header=BB0_3 Depth=1
	v_mov_b32_e32 v3, s8
	v_mad_u64_u32 v[8:9], s[24:25], s20, v3, v[0:1]
	v_mad_u64_u32 v[10:11], s[24:25], v8, s3, 0
	v_mov_b32_e32 v0, v11
	v_mad_u64_u32 v[8:9], s[24:25], v9, s3, v[0:1]
	v_mov_b32_e32 v11, v8
	v_lshlrev_b64 v[8:9], 2, v[10:11]
	v_mov_b32_e32 v3, v1
	v_mov_b32_e32 v0, s19
	v_add_co_u32_e32 v8, vcc, s18, v8
	v_addc_co_u32_e32 v0, vcc, v0, v9, vcc
	v_lshlrev_b64 v[2:3], 2, v[2:3]
	v_add_co_u32_e32 v2, vcc, v8, v2
	v_addc_co_u32_e32 v3, vcc, v0, v3, vcc
	global_load_dword v0, v[2:3], off
	s_waitcnt vmcnt(0)
	ds_write_b32 v6, v0
.LBB0_5:                                ;   in Loop: Header=BB0_3 Depth=1
	s_or_b64 exec, exec, s[0:1]
	v_or_b32_e32 v2, s22, v4
	v_add_u32_e32 v0, s21, v5
	v_cmp_gt_u32_e32 vcc, s8, v2
	v_cmp_gt_u32_e64 s[0:1], s9, v0
	s_and_b64 s[22:23], s[0:1], vcc
	s_waitcnt lgkmcnt(0)
	s_barrier
	s_and_saveexec_b64 s[0:1], s[22:23]
	s_cbranch_execz .LBB0_2
; %bb.6:                                ;   in Loop: Header=BB0_3 Depth=1
	v_mov_b32_e32 v3, s3
	v_mad_u64_u32 v[8:9], s[20:21], s20, v3, v[0:1]
	v_mad_u64_u32 v[10:11], s[20:21], v8, s8, 0
	v_mov_b32_e32 v0, v11
	v_mad_u64_u32 v[8:9], s[20:21], v9, s8, v[0:1]
	v_mov_b32_e32 v11, v8
	ds_read_b32 v0, v7
	v_lshlrev_b64 v[8:9], 2, v[10:11]
	v_mov_b32_e32 v3, v1
	v_mov_b32_e32 v10, s17
	v_add_co_u32_e32 v8, vcc, s16, v8
	v_addc_co_u32_e32 v9, vcc, v10, v9, vcc
	v_lshlrev_b64 v[2:3], 2, v[2:3]
	v_add_co_u32_e32 v2, vcc, v8, v2
	v_addc_co_u32_e32 v3, vcc, v9, v3, vcc
	s_waitcnt lgkmcnt(0)
	global_store_dword v[2:3], v0, off
	s_branch .LBB0_2
.LBB0_7:
	s_endpgm
	.section	.rodata,"a",@progbits
	.p2align	6, 0x0
	.amdhsa_kernel batched_transpose_16x16_dword
		.amdhsa_group_segment_fixed_size 1088
		.amdhsa_private_segment_fixed_size 0
		.amdhsa_kernarg_size 48
		.amdhsa_user_sgpr_count 6
		.amdhsa_user_sgpr_private_segment_buffer 1
		.amdhsa_user_sgpr_dispatch_ptr 0
		.amdhsa_user_sgpr_queue_ptr 0
		.amdhsa_user_sgpr_kernarg_segment_ptr 1
		.amdhsa_user_sgpr_dispatch_id 0
		.amdhsa_user_sgpr_flat_scratch_init 0
		.amdhsa_user_sgpr_kernarg_preload_length 0
		.amdhsa_user_sgpr_kernarg_preload_offset 0
		.amdhsa_user_sgpr_private_segment_size 0
		.amdhsa_uses_dynamic_stack 0
		.amdhsa_system_sgpr_private_segment_wavefront_offset 0
		.amdhsa_system_sgpr_workgroup_id_x 1
		.amdhsa_system_sgpr_workgroup_id_y 0
		.amdhsa_system_sgpr_workgroup_id_z 0
		.amdhsa_system_sgpr_workgroup_info 0
		.amdhsa_system_vgpr_workitem_id 0
		.amdhsa_next_free_vgpr 12
		.amdhsa_next_free_sgpr 26
		.amdhsa_accum_offset 12
		.amdhsa_reserve_vcc 1
		.amdhsa_reserve_flat_scratch 0
		.amdhsa_float_round_mode_32 0
		.amdhsa_float_round_mode_16_64 0
		.amdhsa_float_denorm_mode_32 3
		.amdhsa_float_denorm_mode_16_64 3
		.amdhsa_dx10_clamp 1
		.amdhsa_ieee_mode 1
		.amdhsa_fp16_overflow 0
		.amdhsa_tg_split 0
		.amdhsa_exception_fp_ieee_invalid_op 0
		.amdhsa_exception_fp_denorm_src 0
		.amdhsa_exception_fp_ieee_div_zero 0
		.amdhsa_exception_fp_ieee_overflow 0
		.amdhsa_exception_fp_ieee_underflow 0
		.amdhsa_exception_fp_ieee_inexact 0
		.amdhsa_exception_int_div_zero 0
	.end_amdhsa_kernel
	.text
.Lfunc_end0:
	.size	batched_transpose_16x16_dword, .Lfunc_end0-batched_transpose_16x16_dword
                                        ; -- End function
	.section	.AMDGPU.csdata,"",@progbits
; Kernel info:
; codeLenInByte = 448
; NumSgprs: 30
; NumVgprs: 12
; NumAgprs: 0
; TotalNumVgprs: 12
; ScratchSize: 0
; MemoryBound: 0
; FloatMode: 240
; IeeeMode: 1
; LDSByteSize: 1088 bytes/workgroup (compile time only)
; SGPRBlocks: 3
; VGPRBlocks: 1
; NumSGPRsForWavesPerEU: 30
; NumVGPRsForWavesPerEU: 12
; AccumOffset: 12
; Occupancy: 8
; WaveLimiterHint : 0
; COMPUTE_PGM_RSRC2:SCRATCH_EN: 0
; COMPUTE_PGM_RSRC2:USER_SGPR: 6
; COMPUTE_PGM_RSRC2:TRAP_HANDLER: 0
; COMPUTE_PGM_RSRC2:TGID_X_EN: 1
; COMPUTE_PGM_RSRC2:TGID_Y_EN: 0
; COMPUTE_PGM_RSRC2:TGID_Z_EN: 0
; COMPUTE_PGM_RSRC2:TIDIG_COMP_CNT: 0
; COMPUTE_PGM_RSRC3_GFX90A:ACCUM_OFFSET: 2
; COMPUTE_PGM_RSRC3_GFX90A:TG_SPLIT: 0
	.text
	.protected	batched_transpose_16x16_half ; -- Begin function batched_transpose_16x16_half
	.globl	batched_transpose_16x16_half
	.p2align	8
	.type	batched_transpose_16x16_half,@function
batched_transpose_16x16_half:           ; @batched_transpose_16x16_half
; %bb.0:
	s_load_dwordx8 s[8:15], s[4:5], 0x10
	s_waitcnt lgkmcnt(0)
	s_cmp_ge_u32 s6, s11
	s_cbranch_scc1 .LBB1_7
; %bb.1:
	s_load_dwordx4 s[16:19], s[4:5], 0x0
	s_add_i32 s0, s8, 15
	v_lshrrev_b32_e32 v5, 4, v0
	s_lshr_b32 s2, s0, 4
	s_add_i32 s0, s9, 15
	v_and_b32_e32 v4, 15, v0
	v_mul_u32_u24_e32 v0, 18, v5
	v_add_lshl_u32 v6, v0, v4, 1
	v_mul_u32_u24_e32 v0, 18, v4
	s_and_b32 s0, s0, -16
	s_mov_b32 s3, s9
	v_add_lshl_u32 v7, v0, v5, 1
	s_sub_i32 s4, 0, s0
	s_lshl_b32 s5, s6, 4
	s_lshl_b32 s7, s10, 4
	v_mov_b32_e32 v1, 0
	s_branch .LBB1_3
.LBB1_2:                                ;   in Loop: Header=BB1_3 Depth=1
	s_or_b64 exec, exec, s[0:1]
	s_add_i32 s6, s6, s10
	s_add_i32 s5, s5, s7
	s_cmp_lt_u32 s6, s11
	s_cbranch_scc0 .LBB1_7
.LBB1_3:                                ; =>This Inner Loop Header: Depth=1
	s_mul_hi_u32 s0, s14, s6
	s_add_i32 s0, s6, s0
	s_lshr_b32 s0, s0, s15
	s_mul_hi_u32 s1, s0, s12
	s_add_i32 s1, s0, s1
	s_lshr_b32 s20, s1, s13
	s_mul_i32 s1, s20, s2
	s_sub_i32 s1, s0, s1
	s_mul_i32 s21, s4, s0
	s_add_i32 s21, s21, s5
	s_lshl_b32 s22, s1, 4
	v_add_u32_e32 v2, s21, v4
	v_or_b32_e32 v0, s22, v5
	v_cmp_gt_u32_e32 vcc, s8, v0
	v_cmp_gt_u32_e64 s[0:1], s9, v2
	s_and_b64 s[24:25], vcc, s[0:1]
	s_waitcnt lgkmcnt(0)
	s_barrier
	s_and_saveexec_b64 s[0:1], s[24:25]
	s_cbranch_execz .LBB1_5
; %bb.4:                                ;   in Loop: Header=BB1_3 Depth=1
	v_mov_b32_e32 v3, s8
	v_mad_u64_u32 v[8:9], s[24:25], s20, v3, v[0:1]
	v_mad_u64_u32 v[10:11], s[24:25], v8, s3, 0
	v_mov_b32_e32 v0, v11
	v_mad_u64_u32 v[8:9], s[24:25], v9, s3, v[0:1]
	v_mov_b32_e32 v11, v8
	v_lshlrev_b64 v[8:9], 1, v[10:11]
	v_mov_b32_e32 v3, v1
	v_mov_b32_e32 v0, s19
	v_add_co_u32_e32 v8, vcc, s18, v8
	v_addc_co_u32_e32 v0, vcc, v0, v9, vcc
	v_lshlrev_b64 v[2:3], 1, v[2:3]
	v_add_co_u32_e32 v2, vcc, v8, v2
	v_addc_co_u32_e32 v3, vcc, v0, v3, vcc
	global_load_ushort v0, v[2:3], off
	s_waitcnt vmcnt(0)
	ds_write_b16 v6, v0
.LBB1_5:                                ;   in Loop: Header=BB1_3 Depth=1
	s_or_b64 exec, exec, s[0:1]
	v_or_b32_e32 v2, s22, v4
	v_add_u32_e32 v0, s21, v5
	v_cmp_gt_u32_e32 vcc, s8, v2
	v_cmp_gt_u32_e64 s[0:1], s9, v0
	s_and_b64 s[22:23], s[0:1], vcc
	s_waitcnt lgkmcnt(0)
	s_barrier
	s_and_saveexec_b64 s[0:1], s[22:23]
	s_cbranch_execz .LBB1_2
; %bb.6:                                ;   in Loop: Header=BB1_3 Depth=1
	v_mov_b32_e32 v3, s3
	v_mad_u64_u32 v[8:9], s[20:21], s20, v3, v[0:1]
	v_mad_u64_u32 v[10:11], s[20:21], v8, s8, 0
	v_mov_b32_e32 v0, v11
	v_mad_u64_u32 v[8:9], s[20:21], v9, s8, v[0:1]
	v_mov_b32_e32 v11, v8
	ds_read_u16 v0, v7
	v_lshlrev_b64 v[8:9], 1, v[10:11]
	v_mov_b32_e32 v3, v1
	v_mov_b32_e32 v10, s17
	v_add_co_u32_e32 v8, vcc, s16, v8
	v_addc_co_u32_e32 v9, vcc, v10, v9, vcc
	v_lshlrev_b64 v[2:3], 1, v[2:3]
	v_add_co_u32_e32 v2, vcc, v8, v2
	v_addc_co_u32_e32 v3, vcc, v9, v3, vcc
	s_waitcnt lgkmcnt(0)
	global_store_short v[2:3], v0, off
	s_branch .LBB1_2
.LBB1_7:
	s_endpgm
	.section	.rodata,"a",@progbits
	.p2align	6, 0x0
	.amdhsa_kernel batched_transpose_16x16_half
		.amdhsa_group_segment_fixed_size 576
		.amdhsa_private_segment_fixed_size 0
		.amdhsa_kernarg_size 48
		.amdhsa_user_sgpr_count 6
		.amdhsa_user_sgpr_private_segment_buffer 1
		.amdhsa_user_sgpr_dispatch_ptr 0
		.amdhsa_user_sgpr_queue_ptr 0
		.amdhsa_user_sgpr_kernarg_segment_ptr 1
		.amdhsa_user_sgpr_dispatch_id 0
		.amdhsa_user_sgpr_flat_scratch_init 0
		.amdhsa_user_sgpr_kernarg_preload_length 0
		.amdhsa_user_sgpr_kernarg_preload_offset 0
		.amdhsa_user_sgpr_private_segment_size 0
		.amdhsa_uses_dynamic_stack 0
		.amdhsa_system_sgpr_private_segment_wavefront_offset 0
		.amdhsa_system_sgpr_workgroup_id_x 1
		.amdhsa_system_sgpr_workgroup_id_y 0
		.amdhsa_system_sgpr_workgroup_id_z 0
		.amdhsa_system_sgpr_workgroup_info 0
		.amdhsa_system_vgpr_workitem_id 0
		.amdhsa_next_free_vgpr 12
		.amdhsa_next_free_sgpr 26
		.amdhsa_accum_offset 12
		.amdhsa_reserve_vcc 1
		.amdhsa_reserve_flat_scratch 0
		.amdhsa_float_round_mode_32 0
		.amdhsa_float_round_mode_16_64 0
		.amdhsa_float_denorm_mode_32 3
		.amdhsa_float_denorm_mode_16_64 3
		.amdhsa_dx10_clamp 1
		.amdhsa_ieee_mode 1
		.amdhsa_fp16_overflow 0
		.amdhsa_tg_split 0
		.amdhsa_exception_fp_ieee_invalid_op 0
		.amdhsa_exception_fp_denorm_src 0
		.amdhsa_exception_fp_ieee_div_zero 0
		.amdhsa_exception_fp_ieee_overflow 0
		.amdhsa_exception_fp_ieee_underflow 0
		.amdhsa_exception_fp_ieee_inexact 0
		.amdhsa_exception_int_div_zero 0
	.end_amdhsa_kernel
	.text
.Lfunc_end1:
	.size	batched_transpose_16x16_half, .Lfunc_end1-batched_transpose_16x16_half
                                        ; -- End function
	.section	.AMDGPU.csdata,"",@progbits
; Kernel info:
; codeLenInByte = 448
; NumSgprs: 30
; NumVgprs: 12
; NumAgprs: 0
; TotalNumVgprs: 12
; ScratchSize: 0
; MemoryBound: 0
; FloatMode: 240
; IeeeMode: 1
; LDSByteSize: 576 bytes/workgroup (compile time only)
; SGPRBlocks: 3
; VGPRBlocks: 1
; NumSGPRsForWavesPerEU: 30
; NumVGPRsForWavesPerEU: 12
; AccumOffset: 12
; Occupancy: 8
; WaveLimiterHint : 0
; COMPUTE_PGM_RSRC2:SCRATCH_EN: 0
; COMPUTE_PGM_RSRC2:USER_SGPR: 6
; COMPUTE_PGM_RSRC2:TRAP_HANDLER: 0
; COMPUTE_PGM_RSRC2:TGID_X_EN: 1
; COMPUTE_PGM_RSRC2:TGID_Y_EN: 0
; COMPUTE_PGM_RSRC2:TGID_Z_EN: 0
; COMPUTE_PGM_RSRC2:TIDIG_COMP_CNT: 0
; COMPUTE_PGM_RSRC3_GFX90A:ACCUM_OFFSET: 2
; COMPUTE_PGM_RSRC3_GFX90A:TG_SPLIT: 0
	.text
	.protected	batched_transpose_16x16_byte ; -- Begin function batched_transpose_16x16_byte
	.globl	batched_transpose_16x16_byte
	.p2align	8
	.type	batched_transpose_16x16_byte,@function
batched_transpose_16x16_byte:           ; @batched_transpose_16x16_byte
; %bb.0:
	s_load_dwordx8 s[8:15], s[4:5], 0x10
	s_waitcnt lgkmcnt(0)
	s_cmp_ge_u32 s6, s11
	s_cbranch_scc1 .LBB2_7
; %bb.1:
	s_load_dwordx4 s[16:19], s[4:5], 0x0
	s_add_i32 s0, s8, 15
	s_lshr_b32 s2, s0, 4
	s_add_i32 s0, s9, 15
	v_and_b32_e32 v2, 15, v0
	v_lshrrev_b32_e32 v3, 4, v0
	s_and_b32 s0, s0, -16
	s_mov_b32 s3, s9
	v_mad_u32_u24 v4, v3, 20, v2
	v_mad_u32_u24 v5, v2, 20, v3
	s_sub_i32 s4, 0, s0
	s_lshl_b32 s5, s6, 4
	s_lshl_b32 s7, s10, 4
	v_mov_b32_e32 v1, 0
	s_branch .LBB2_3
.LBB2_2:                                ;   in Loop: Header=BB2_3 Depth=1
	s_or_b64 exec, exec, s[0:1]
	s_add_i32 s6, s6, s10
	s_add_i32 s5, s5, s7
	s_cmp_lt_u32 s6, s11
	s_cbranch_scc0 .LBB2_7
.LBB2_3:                                ; =>This Inner Loop Header: Depth=1
	s_mul_hi_u32 s0, s14, s6
	s_add_i32 s0, s6, s0
	s_lshr_b32 s0, s0, s15
	s_mul_hi_u32 s1, s0, s12
	s_add_i32 s1, s0, s1
	s_lshr_b32 s20, s1, s13
	s_mul_i32 s1, s20, s2
	s_sub_i32 s1, s0, s1
	s_mul_i32 s21, s4, s0
	s_add_i32 s21, s21, s5
	s_lshl_b32 s22, s1, 4
	v_add_u32_e32 v6, s21, v2
	v_or_b32_e32 v0, s22, v3
	v_cmp_gt_u32_e32 vcc, s8, v0
	v_cmp_gt_u32_e64 s[0:1], s9, v6
	s_and_b64 s[24:25], vcc, s[0:1]
	s_waitcnt lgkmcnt(0)
	s_barrier
	s_and_saveexec_b64 s[0:1], s[24:25]
	s_cbranch_execz .LBB2_5
; %bb.4:                                ;   in Loop: Header=BB2_3 Depth=1
	v_mov_b32_e32 v7, s8
	v_mad_u64_u32 v[8:9], s[24:25], s20, v7, v[0:1]
	v_pk_mov_b32 v[10:11], s[18:19], s[18:19] op_sel:[0,1]
	v_mad_u64_u32 v[10:11], s[24:25], v8, s3, v[10:11]
	v_mov_b32_e32 v0, v11
	v_mad_u64_u32 v[8:9], s[24:25], v9, s3, v[0:1]
	v_mov_b32_e32 v7, v8
	v_add_co_u32_e32 v6, vcc, v10, v6
	v_addc_co_u32_e32 v7, vcc, 0, v7, vcc
	global_load_ubyte v0, v[6:7], off
	s_waitcnt vmcnt(0)
	ds_write_b8 v4, v0
.LBB2_5:                                ;   in Loop: Header=BB2_3 Depth=1
	s_or_b64 exec, exec, s[0:1]
	v_or_b32_e32 v6, s22, v2
	v_add_u32_e32 v0, s21, v3
	v_cmp_gt_u32_e32 vcc, s8, v6
	v_cmp_gt_u32_e64 s[0:1], s9, v0
	s_and_b64 s[22:23], s[0:1], vcc
	s_waitcnt lgkmcnt(0)
	s_barrier
	s_and_saveexec_b64 s[0:1], s[22:23]
	s_cbranch_execz .LBB2_2
; %bb.6:                                ;   in Loop: Header=BB2_3 Depth=1
	v_mov_b32_e32 v7, s3
	v_mad_u64_u32 v[8:9], s[20:21], s20, v7, v[0:1]
	v_pk_mov_b32 v[10:11], s[16:17], s[16:17] op_sel:[0,1]
	ds_read_u8 v12, v5
	v_mad_u64_u32 v[10:11], s[20:21], v8, s8, v[10:11]
	v_mov_b32_e32 v0, v11
	v_mad_u64_u32 v[8:9], s[20:21], v9, s8, v[0:1]
	v_mov_b32_e32 v7, v8
	v_add_co_u32_e32 v6, vcc, v10, v6
	v_addc_co_u32_e32 v7, vcc, 0, v7, vcc
	s_waitcnt lgkmcnt(0)
	global_store_byte v[6:7], v12, off
	s_branch .LBB2_2
.LBB2_7:
	s_endpgm
	.section	.rodata,"a",@progbits
	.p2align	6, 0x0
	.amdhsa_kernel batched_transpose_16x16_byte
		.amdhsa_group_segment_fixed_size 320
		.amdhsa_private_segment_fixed_size 0
		.amdhsa_kernarg_size 48
		.amdhsa_user_sgpr_count 6
		.amdhsa_user_sgpr_private_segment_buffer 1
		.amdhsa_user_sgpr_dispatch_ptr 0
		.amdhsa_user_sgpr_queue_ptr 0
		.amdhsa_user_sgpr_kernarg_segment_ptr 1
		.amdhsa_user_sgpr_dispatch_id 0
		.amdhsa_user_sgpr_flat_scratch_init 0
		.amdhsa_user_sgpr_kernarg_preload_length 0
		.amdhsa_user_sgpr_kernarg_preload_offset 0
		.amdhsa_user_sgpr_private_segment_size 0
		.amdhsa_uses_dynamic_stack 0
		.amdhsa_system_sgpr_private_segment_wavefront_offset 0
		.amdhsa_system_sgpr_workgroup_id_x 1
		.amdhsa_system_sgpr_workgroup_id_y 0
		.amdhsa_system_sgpr_workgroup_id_z 0
		.amdhsa_system_sgpr_workgroup_info 0
		.amdhsa_system_vgpr_workitem_id 0
		.amdhsa_next_free_vgpr 13
		.amdhsa_next_free_sgpr 26
		.amdhsa_accum_offset 16
		.amdhsa_reserve_vcc 1
		.amdhsa_reserve_flat_scratch 0
		.amdhsa_float_round_mode_32 0
		.amdhsa_float_round_mode_16_64 0
		.amdhsa_float_denorm_mode_32 3
		.amdhsa_float_denorm_mode_16_64 3
		.amdhsa_dx10_clamp 1
		.amdhsa_ieee_mode 1
		.amdhsa_fp16_overflow 0
		.amdhsa_tg_split 0
		.amdhsa_exception_fp_ieee_invalid_op 0
		.amdhsa_exception_fp_denorm_src 0
		.amdhsa_exception_fp_ieee_div_zero 0
		.amdhsa_exception_fp_ieee_overflow 0
		.amdhsa_exception_fp_ieee_underflow 0
		.amdhsa_exception_fp_ieee_inexact 0
		.amdhsa_exception_int_div_zero 0
	.end_amdhsa_kernel
	.text
.Lfunc_end2:
	.size	batched_transpose_16x16_byte, .Lfunc_end2-batched_transpose_16x16_byte
                                        ; -- End function
	.section	.AMDGPU.csdata,"",@progbits
; Kernel info:
; codeLenInByte = 392
; NumSgprs: 30
; NumVgprs: 13
; NumAgprs: 0
; TotalNumVgprs: 13
; ScratchSize: 0
; MemoryBound: 0
; FloatMode: 240
; IeeeMode: 1
; LDSByteSize: 320 bytes/workgroup (compile time only)
; SGPRBlocks: 3
; VGPRBlocks: 1
; NumSGPRsForWavesPerEU: 30
; NumVGPRsForWavesPerEU: 13
; AccumOffset: 16
; Occupancy: 8
; WaveLimiterHint : 0
; COMPUTE_PGM_RSRC2:SCRATCH_EN: 0
; COMPUTE_PGM_RSRC2:USER_SGPR: 6
; COMPUTE_PGM_RSRC2:TRAP_HANDLER: 0
; COMPUTE_PGM_RSRC2:TGID_X_EN: 1
; COMPUTE_PGM_RSRC2:TGID_Y_EN: 0
; COMPUTE_PGM_RSRC2:TGID_Z_EN: 0
; COMPUTE_PGM_RSRC2:TIDIG_COMP_CNT: 0
; COMPUTE_PGM_RSRC3_GFX90A:ACCUM_OFFSET: 3
; COMPUTE_PGM_RSRC3_GFX90A:TG_SPLIT: 0
	.text
	.protected	batched_transpose_32x16_dword ; -- Begin function batched_transpose_32x16_dword
	.globl	batched_transpose_32x16_dword
	.p2align	8
	.type	batched_transpose_32x16_dword,@function
batched_transpose_32x16_dword:          ; @batched_transpose_32x16_dword
; %bb.0:
	s_load_dwordx8 s[8:15], s[4:5], 0x10
	s_waitcnt lgkmcnt(0)
	s_cmp_ge_u32 s6, s11
	s_cbranch_scc1 .LBB3_11
; %bb.1:
	s_load_dwordx4 s[16:19], s[4:5], 0x0
	s_add_i32 s0, s8, 15
	s_lshr_b32 s4, s0, 4
	s_mov_b32 s1, 0
	s_lshl_b32 s0, s8, 4
	s_add_i32 s2, s9, 31
	s_lshl_b64 s[0:1], s[0:1], 2
	s_waitcnt lgkmcnt(0)
	s_add_u32 s7, s16, s0
	v_lshrrev_b32_e32 v7, 4, v0
	s_addc_u32 s20, s17, s1
	v_and_b32_e32 v6, 15, v0
	v_mul_u32_u24_e32 v0, 17, v7
	s_add_u32 s21, s18, 64
	v_add_lshl_u32 v8, v0, v6, 2
	v_mul_u32_u24_e32 v0, 17, v6
	s_addc_u32 s22, s19, 0
	s_andn2_b32 s2, s2, 31
	s_mov_b32 s5, s9
	v_add_lshl_u32 v9, v0, v7, 2
	s_sub_i32 s23, 0, s2
	s_lshl_b32 s24, s6, 5
	s_lshl_b32 s25, s10, 5
	v_mov_b32_e32 v10, s8
	v_mov_b32_e32 v11, s9
	;; [unrolled: 1-line block ×3, first 2 shown]
                                        ; implicit-def: $vgpr12
                                        ; implicit-def: $vgpr13
	s_branch .LBB3_3
.LBB3_2:                                ;   in Loop: Header=BB3_3 Depth=1
	s_or_b64 exec, exec, s[0:1]
	s_add_i32 s6, s6, s10
	s_add_i32 s24, s24, s25
	s_cmp_lt_u32 s6, s11
	s_cbranch_scc0 .LBB3_11
.LBB3_3:                                ; =>This Inner Loop Header: Depth=1
	s_mul_hi_u32 s0, s14, s6
	s_add_i32 s0, s6, s0
	s_lshr_b32 s0, s0, s15
	s_mul_hi_u32 s1, s0, s12
	s_add_i32 s1, s0, s1
	s_lshr_b32 s26, s1, s13
	s_mul_i32 s1, s26, s4
	s_sub_i32 s1, s0, s1
	s_mul_i32 s27, s23, s0
	s_lshl_b32 s28, s1, 4
	s_add_i32 s27, s27, s24
	v_or_b32_e32 v0, s28, v7
	v_add_u32_e32 v2, s27, v6
	s_waitcnt lgkmcnt(0)
	v_mad_u64_u32 v[4:5], s[0:1], s26, v10, v[0:1]
	v_mov_b32_e32 v3, v1
	v_mad_u64_u32 v[14:15], s[0:1], v4, s5, v[2:3]
	v_mov_b32_e32 v4, v15
	;; [unrolled: 2-line block ×3, first 2 shown]
	v_cmp_gt_u32_e32 vcc, s8, v0
	v_cmp_gt_u32_e64 s[0:1], s9, v2
	s_and_b64 s[0:1], vcc, s[0:1]
	v_lshlrev_b64 v[4:5], 2, v[14:15]
	s_barrier
	s_and_saveexec_b64 s[2:3], s[0:1]
	s_cbranch_execz .LBB3_5
; %bb.4:                                ;   in Loop: Header=BB3_3 Depth=1
	v_mov_b32_e32 v0, s19
	v_add_co_u32_e64 v14, s[0:1], s18, v4
	v_addc_co_u32_e64 v15, s[0:1], v0, v5, s[0:1]
	global_load_dword v13, v[14:15], off
.LBB3_5:                                ;   in Loop: Header=BB3_3 Depth=1
	s_or_b64 exec, exec, s[2:3]
	v_add_u32_e32 v0, 16, v2
	v_cmp_gt_u32_e64 s[0:1], s9, v0
	s_and_b64 s[2:3], vcc, s[0:1]
	s_and_saveexec_b64 s[0:1], s[2:3]
	s_cbranch_execz .LBB3_7
; %bb.6:                                ;   in Loop: Header=BB3_3 Depth=1
	v_mov_b32_e32 v0, s22
	v_add_co_u32_e32 v2, vcc, s21, v4
	v_addc_co_u32_e32 v3, vcc, v0, v5, vcc
	global_load_dword v12, v[2:3], off
.LBB3_7:                                ;   in Loop: Header=BB3_3 Depth=1
	s_or_b64 exec, exec, s[0:1]
	v_add_u32_e32 v0, s27, v7
	v_or_b32_e32 v2, s28, v6
	v_mad_u64_u32 v[4:5], s[0:1], s26, v11, v[0:1]
	v_mov_b32_e32 v3, v1
	v_mad_u64_u32 v[14:15], s[0:1], v4, s8, v[2:3]
	v_mov_b32_e32 v4, v15
	v_mad_u64_u32 v[4:5], s[0:1], v5, s8, v[4:5]
	s_waitcnt vmcnt(0)
	ds_write_b32 v8, v13
	ds_write_b32 v8, v12 offset:1088
	s_waitcnt lgkmcnt(0)
	s_barrier
	v_mov_b32_e32 v15, v4
	ds_read_b32 v4, v9 offset:1088
	v_cmp_gt_u32_e32 vcc, s8, v2
	v_cmp_gt_u32_e64 s[0:1], s9, v0
	s_and_b64 s[0:1], s[0:1], vcc
	v_lshlrev_b64 v[2:3], 2, v[14:15]
	s_and_saveexec_b64 s[2:3], s[0:1]
	s_cbranch_execz .LBB3_9
; %bb.8:                                ;   in Loop: Header=BB3_3 Depth=1
	ds_read_b32 v16, v9
	v_mov_b32_e32 v5, s17
	v_add_co_u32_e64 v14, s[0:1], s16, v2
	v_addc_co_u32_e64 v15, s[0:1], v5, v3, s[0:1]
	s_waitcnt lgkmcnt(0)
	global_store_dword v[14:15], v16, off
.LBB3_9:                                ;   in Loop: Header=BB3_3 Depth=1
	s_or_b64 exec, exec, s[2:3]
	v_add_u32_e32 v0, 16, v0
	v_cmp_gt_u32_e64 s[0:1], s9, v0
	s_and_b64 s[2:3], s[0:1], vcc
	s_and_saveexec_b64 s[0:1], s[2:3]
	s_cbranch_execz .LBB3_2
; %bb.10:                               ;   in Loop: Header=BB3_3 Depth=1
	v_mov_b32_e32 v0, s20
	v_add_co_u32_e32 v2, vcc, s7, v2
	v_addc_co_u32_e32 v3, vcc, v0, v3, vcc
	s_waitcnt lgkmcnt(0)
	global_store_dword v[2:3], v4, off
	s_branch .LBB3_2
.LBB3_11:
	s_endpgm
	.section	.rodata,"a",@progbits
	.p2align	6, 0x0
	.amdhsa_kernel batched_transpose_32x16_dword
		.amdhsa_group_segment_fixed_size 2176
		.amdhsa_private_segment_fixed_size 0
		.amdhsa_kernarg_size 48
		.amdhsa_user_sgpr_count 6
		.amdhsa_user_sgpr_private_segment_buffer 1
		.amdhsa_user_sgpr_dispatch_ptr 0
		.amdhsa_user_sgpr_queue_ptr 0
		.amdhsa_user_sgpr_kernarg_segment_ptr 1
		.amdhsa_user_sgpr_dispatch_id 0
		.amdhsa_user_sgpr_flat_scratch_init 0
		.amdhsa_user_sgpr_kernarg_preload_length 0
		.amdhsa_user_sgpr_kernarg_preload_offset 0
		.amdhsa_user_sgpr_private_segment_size 0
		.amdhsa_uses_dynamic_stack 0
		.amdhsa_system_sgpr_private_segment_wavefront_offset 0
		.amdhsa_system_sgpr_workgroup_id_x 1
		.amdhsa_system_sgpr_workgroup_id_y 0
		.amdhsa_system_sgpr_workgroup_id_z 0
		.amdhsa_system_sgpr_workgroup_info 0
		.amdhsa_system_vgpr_workitem_id 0
		.amdhsa_next_free_vgpr 17
		.amdhsa_next_free_sgpr 29
		.amdhsa_accum_offset 20
		.amdhsa_reserve_vcc 1
		.amdhsa_reserve_flat_scratch 0
		.amdhsa_float_round_mode_32 0
		.amdhsa_float_round_mode_16_64 0
		.amdhsa_float_denorm_mode_32 3
		.amdhsa_float_denorm_mode_16_64 3
		.amdhsa_dx10_clamp 1
		.amdhsa_ieee_mode 1
		.amdhsa_fp16_overflow 0
		.amdhsa_tg_split 0
		.amdhsa_exception_fp_ieee_invalid_op 0
		.amdhsa_exception_fp_denorm_src 0
		.amdhsa_exception_fp_ieee_div_zero 0
		.amdhsa_exception_fp_ieee_overflow 0
		.amdhsa_exception_fp_ieee_underflow 0
		.amdhsa_exception_fp_ieee_inexact 0
		.amdhsa_exception_int_div_zero 0
	.end_amdhsa_kernel
	.text
.Lfunc_end3:
	.size	batched_transpose_32x16_dword, .Lfunc_end3-batched_transpose_32x16_dword
                                        ; -- End function
	.section	.AMDGPU.csdata,"",@progbits
; Kernel info:
; codeLenInByte = 580
; NumSgprs: 33
; NumVgprs: 17
; NumAgprs: 0
; TotalNumVgprs: 17
; ScratchSize: 0
; MemoryBound: 0
; FloatMode: 240
; IeeeMode: 1
; LDSByteSize: 2176 bytes/workgroup (compile time only)
; SGPRBlocks: 4
; VGPRBlocks: 2
; NumSGPRsForWavesPerEU: 33
; NumVGPRsForWavesPerEU: 17
; AccumOffset: 20
; Occupancy: 8
; WaveLimiterHint : 0
; COMPUTE_PGM_RSRC2:SCRATCH_EN: 0
; COMPUTE_PGM_RSRC2:USER_SGPR: 6
; COMPUTE_PGM_RSRC2:TRAP_HANDLER: 0
; COMPUTE_PGM_RSRC2:TGID_X_EN: 1
; COMPUTE_PGM_RSRC2:TGID_Y_EN: 0
; COMPUTE_PGM_RSRC2:TGID_Z_EN: 0
; COMPUTE_PGM_RSRC2:TIDIG_COMP_CNT: 0
; COMPUTE_PGM_RSRC3_GFX90A:ACCUM_OFFSET: 4
; COMPUTE_PGM_RSRC3_GFX90A:TG_SPLIT: 0
	.text
	.protected	batched_transpose_32x16_half ; -- Begin function batched_transpose_32x16_half
	.globl	batched_transpose_32x16_half
	.p2align	8
	.type	batched_transpose_32x16_half,@function
batched_transpose_32x16_half:           ; @batched_transpose_32x16_half
; %bb.0:
	s_load_dwordx8 s[8:15], s[4:5], 0x10
	s_waitcnt lgkmcnt(0)
	s_cmp_ge_u32 s6, s11
	s_cbranch_scc1 .LBB4_11
; %bb.1:
	s_load_dwordx4 s[16:19], s[4:5], 0x0
	s_add_i32 s0, s8, 15
	s_lshr_b32 s4, s0, 4
	s_mov_b32 s1, 0
	s_lshl_b32 s0, s8, 4
	s_add_i32 s2, s9, 31
	s_lshl_b64 s[0:1], s[0:1], 1
	s_waitcnt lgkmcnt(0)
	s_add_u32 s7, s16, s0
	v_lshrrev_b32_e32 v7, 4, v0
	s_addc_u32 s20, s17, s1
	v_and_b32_e32 v6, 15, v0
	v_mul_u32_u24_e32 v0, 18, v7
	s_add_u32 s21, s18, 32
	v_add_lshl_u32 v8, v0, v6, 1
	v_mul_u32_u24_e32 v0, 18, v6
	s_addc_u32 s22, s19, 0
	s_andn2_b32 s2, s2, 31
	s_mov_b32 s5, s9
	v_add_lshl_u32 v9, v0, v7, 1
	s_sub_i32 s23, 0, s2
	s_lshl_b32 s24, s6, 5
	s_lshl_b32 s25, s10, 5
	v_mov_b32_e32 v10, s8
	v_mov_b32_e32 v11, s9
	;; [unrolled: 1-line block ×3, first 2 shown]
                                        ; implicit-def: $vgpr12
                                        ; implicit-def: $vgpr13
	s_branch .LBB4_3
.LBB4_2:                                ;   in Loop: Header=BB4_3 Depth=1
	s_or_b64 exec, exec, s[0:1]
	s_add_i32 s6, s6, s10
	s_add_i32 s24, s24, s25
	s_cmp_lt_u32 s6, s11
	s_cbranch_scc0 .LBB4_11
.LBB4_3:                                ; =>This Inner Loop Header: Depth=1
	s_mul_hi_u32 s0, s14, s6
	s_add_i32 s0, s6, s0
	s_lshr_b32 s0, s0, s15
	s_mul_hi_u32 s1, s0, s12
	s_add_i32 s1, s0, s1
	s_lshr_b32 s26, s1, s13
	s_mul_i32 s1, s26, s4
	s_sub_i32 s1, s0, s1
	s_mul_i32 s27, s23, s0
	s_lshl_b32 s28, s1, 4
	s_add_i32 s27, s27, s24
	v_or_b32_e32 v0, s28, v7
	v_add_u32_e32 v2, s27, v6
	s_waitcnt lgkmcnt(0)
	v_mad_u64_u32 v[4:5], s[0:1], s26, v10, v[0:1]
	v_mov_b32_e32 v3, v1
	v_mad_u64_u32 v[14:15], s[0:1], v4, s5, v[2:3]
	v_mov_b32_e32 v4, v15
	;; [unrolled: 2-line block ×3, first 2 shown]
	v_cmp_gt_u32_e32 vcc, s8, v0
	v_cmp_gt_u32_e64 s[0:1], s9, v2
	s_and_b64 s[0:1], vcc, s[0:1]
	v_lshlrev_b64 v[4:5], 1, v[14:15]
	s_barrier
	s_and_saveexec_b64 s[2:3], s[0:1]
	s_cbranch_execz .LBB4_5
; %bb.4:                                ;   in Loop: Header=BB4_3 Depth=1
	v_mov_b32_e32 v0, s19
	v_add_co_u32_e64 v14, s[0:1], s18, v4
	v_addc_co_u32_e64 v15, s[0:1], v0, v5, s[0:1]
	global_load_ushort v13, v[14:15], off
.LBB4_5:                                ;   in Loop: Header=BB4_3 Depth=1
	s_or_b64 exec, exec, s[2:3]
	v_add_u32_e32 v0, 16, v2
	v_cmp_gt_u32_e64 s[0:1], s9, v0
	s_and_b64 s[2:3], vcc, s[0:1]
	s_and_saveexec_b64 s[0:1], s[2:3]
	s_cbranch_execz .LBB4_7
; %bb.6:                                ;   in Loop: Header=BB4_3 Depth=1
	v_mov_b32_e32 v0, s22
	v_add_co_u32_e32 v2, vcc, s21, v4
	v_addc_co_u32_e32 v3, vcc, v0, v5, vcc
	global_load_ushort v12, v[2:3], off
.LBB4_7:                                ;   in Loop: Header=BB4_3 Depth=1
	s_or_b64 exec, exec, s[0:1]
	v_add_u32_e32 v0, s27, v7
	v_or_b32_e32 v2, s28, v6
	v_mad_u64_u32 v[4:5], s[0:1], s26, v11, v[0:1]
	v_mov_b32_e32 v3, v1
	v_mad_u64_u32 v[14:15], s[0:1], v4, s8, v[2:3]
	v_mov_b32_e32 v4, v15
	v_mad_u64_u32 v[4:5], s[0:1], v5, s8, v[4:5]
	s_waitcnt vmcnt(0)
	ds_write_b16 v8, v13
	ds_write_b16 v8, v12 offset:576
	s_waitcnt lgkmcnt(0)
	s_barrier
	v_mov_b32_e32 v15, v4
	ds_read_u16 v4, v9 offset:576
	v_cmp_gt_u32_e32 vcc, s8, v2
	v_cmp_gt_u32_e64 s[0:1], s9, v0
	s_and_b64 s[0:1], s[0:1], vcc
	v_lshlrev_b64 v[2:3], 1, v[14:15]
	s_and_saveexec_b64 s[2:3], s[0:1]
	s_cbranch_execz .LBB4_9
; %bb.8:                                ;   in Loop: Header=BB4_3 Depth=1
	ds_read_u16 v16, v9
	v_mov_b32_e32 v5, s17
	v_add_co_u32_e64 v14, s[0:1], s16, v2
	v_addc_co_u32_e64 v15, s[0:1], v5, v3, s[0:1]
	s_waitcnt lgkmcnt(0)
	global_store_short v[14:15], v16, off
.LBB4_9:                                ;   in Loop: Header=BB4_3 Depth=1
	s_or_b64 exec, exec, s[2:3]
	v_add_u32_e32 v0, 16, v0
	v_cmp_gt_u32_e64 s[0:1], s9, v0
	s_and_b64 s[2:3], s[0:1], vcc
	s_and_saveexec_b64 s[0:1], s[2:3]
	s_cbranch_execz .LBB4_2
; %bb.10:                               ;   in Loop: Header=BB4_3 Depth=1
	v_mov_b32_e32 v0, s20
	v_add_co_u32_e32 v2, vcc, s7, v2
	v_addc_co_u32_e32 v3, vcc, v0, v3, vcc
	s_waitcnt lgkmcnt(0)
	global_store_short v[2:3], v4, off
	s_branch .LBB4_2
.LBB4_11:
	s_endpgm
	.section	.rodata,"a",@progbits
	.p2align	6, 0x0
	.amdhsa_kernel batched_transpose_32x16_half
		.amdhsa_group_segment_fixed_size 1152
		.amdhsa_private_segment_fixed_size 0
		.amdhsa_kernarg_size 48
		.amdhsa_user_sgpr_count 6
		.amdhsa_user_sgpr_private_segment_buffer 1
		.amdhsa_user_sgpr_dispatch_ptr 0
		.amdhsa_user_sgpr_queue_ptr 0
		.amdhsa_user_sgpr_kernarg_segment_ptr 1
		.amdhsa_user_sgpr_dispatch_id 0
		.amdhsa_user_sgpr_flat_scratch_init 0
		.amdhsa_user_sgpr_kernarg_preload_length 0
		.amdhsa_user_sgpr_kernarg_preload_offset 0
		.amdhsa_user_sgpr_private_segment_size 0
		.amdhsa_uses_dynamic_stack 0
		.amdhsa_system_sgpr_private_segment_wavefront_offset 0
		.amdhsa_system_sgpr_workgroup_id_x 1
		.amdhsa_system_sgpr_workgroup_id_y 0
		.amdhsa_system_sgpr_workgroup_id_z 0
		.amdhsa_system_sgpr_workgroup_info 0
		.amdhsa_system_vgpr_workitem_id 0
		.amdhsa_next_free_vgpr 17
		.amdhsa_next_free_sgpr 29
		.amdhsa_accum_offset 20
		.amdhsa_reserve_vcc 1
		.amdhsa_reserve_flat_scratch 0
		.amdhsa_float_round_mode_32 0
		.amdhsa_float_round_mode_16_64 0
		.amdhsa_float_denorm_mode_32 3
		.amdhsa_float_denorm_mode_16_64 3
		.amdhsa_dx10_clamp 1
		.amdhsa_ieee_mode 1
		.amdhsa_fp16_overflow 0
		.amdhsa_tg_split 0
		.amdhsa_exception_fp_ieee_invalid_op 0
		.amdhsa_exception_fp_denorm_src 0
		.amdhsa_exception_fp_ieee_div_zero 0
		.amdhsa_exception_fp_ieee_overflow 0
		.amdhsa_exception_fp_ieee_underflow 0
		.amdhsa_exception_fp_ieee_inexact 0
		.amdhsa_exception_int_div_zero 0
	.end_amdhsa_kernel
	.text
.Lfunc_end4:
	.size	batched_transpose_32x16_half, .Lfunc_end4-batched_transpose_32x16_half
                                        ; -- End function
	.section	.AMDGPU.csdata,"",@progbits
; Kernel info:
; codeLenInByte = 580
; NumSgprs: 33
; NumVgprs: 17
; NumAgprs: 0
; TotalNumVgprs: 17
; ScratchSize: 0
; MemoryBound: 0
; FloatMode: 240
; IeeeMode: 1
; LDSByteSize: 1152 bytes/workgroup (compile time only)
; SGPRBlocks: 4
; VGPRBlocks: 2
; NumSGPRsForWavesPerEU: 33
; NumVGPRsForWavesPerEU: 17
; AccumOffset: 20
; Occupancy: 8
; WaveLimiterHint : 0
; COMPUTE_PGM_RSRC2:SCRATCH_EN: 0
; COMPUTE_PGM_RSRC2:USER_SGPR: 6
; COMPUTE_PGM_RSRC2:TRAP_HANDLER: 0
; COMPUTE_PGM_RSRC2:TGID_X_EN: 1
; COMPUTE_PGM_RSRC2:TGID_Y_EN: 0
; COMPUTE_PGM_RSRC2:TGID_Z_EN: 0
; COMPUTE_PGM_RSRC2:TIDIG_COMP_CNT: 0
; COMPUTE_PGM_RSRC3_GFX90A:ACCUM_OFFSET: 4
; COMPUTE_PGM_RSRC3_GFX90A:TG_SPLIT: 0
	.text
	.protected	batched_transpose_32x16_byte ; -- Begin function batched_transpose_32x16_byte
	.globl	batched_transpose_32x16_byte
	.p2align	8
	.type	batched_transpose_32x16_byte,@function
batched_transpose_32x16_byte:           ; @batched_transpose_32x16_byte
; %bb.0:
	s_load_dwordx8 s[8:15], s[4:5], 0x10
	s_waitcnt lgkmcnt(0)
	s_cmp_ge_u32 s6, s11
	s_cbranch_scc1 .LBB5_11
; %bb.1:
	s_load_dwordx4 s[16:19], s[4:5], 0x0
	s_add_i32 s0, s8, 15
	s_lshr_b32 s4, s0, 4
	s_add_i32 s0, s9, 31
	s_lshl_b32 s1, s8, 4
	s_waitcnt lgkmcnt(0)
	s_add_u32 s7, s16, s1
	s_addc_u32 s20, s17, 0
	s_add_u32 s21, s18, 16
	v_and_b32_e32 v6, 15, v0
	v_lshrrev_b32_e32 v7, 4, v0
	s_addc_u32 s22, s19, 0
	s_andn2_b32 s0, s0, 31
	s_mov_b32 s5, s9
	v_mad_u32_u24 v8, v7, 20, v6
	v_mad_u32_u24 v9, v6, 20, v7
	s_sub_i32 s23, 0, s0
	s_lshl_b32 s24, s6, 5
	s_lshl_b32 s25, s10, 5
	v_mov_b32_e32 v10, s8
	v_mov_b32_e32 v11, s9
	;; [unrolled: 1-line block ×3, first 2 shown]
                                        ; implicit-def: $vgpr12
                                        ; implicit-def: $vgpr13
	s_branch .LBB5_3
.LBB5_2:                                ;   in Loop: Header=BB5_3 Depth=1
	s_or_b64 exec, exec, s[0:1]
	s_add_i32 s6, s6, s10
	s_add_i32 s24, s24, s25
	s_cmp_lt_u32 s6, s11
	s_cbranch_scc0 .LBB5_11
.LBB5_3:                                ; =>This Inner Loop Header: Depth=1
	s_mul_hi_u32 s0, s14, s6
	s_add_i32 s0, s6, s0
	s_lshr_b32 s0, s0, s15
	s_mul_hi_u32 s1, s0, s12
	s_add_i32 s1, s0, s1
	s_lshr_b32 s26, s1, s13
	s_mul_i32 s1, s26, s4
	s_sub_i32 s1, s0, s1
	s_mul_i32 s27, s23, s0
	s_lshl_b32 s28, s1, 4
	s_add_i32 s27, s27, s24
	v_or_b32_e32 v0, s28, v7
	s_waitcnt lgkmcnt(0)
	v_add_u32_e32 v4, s27, v6
	v_mad_u64_u32 v[14:15], s[0:1], s26, v10, v[0:1]
	v_mov_b32_e32 v5, v1
	v_mad_u64_u32 v[2:3], s[0:1], v14, s5, v[4:5]
	v_mov_b32_e32 v14, v3
	v_mad_u64_u32 v[14:15], s[0:1], v15, s5, v[14:15]
	v_cmp_gt_u32_e32 vcc, s8, v0
	v_cmp_gt_u32_e64 s[0:1], s9, v4
	v_mov_b32_e32 v3, v14
	s_and_b64 s[0:1], vcc, s[0:1]
	s_barrier
	s_and_saveexec_b64 s[2:3], s[0:1]
	s_cbranch_execz .LBB5_5
; %bb.4:                                ;   in Loop: Header=BB5_3 Depth=1
	v_mov_b32_e32 v0, s19
	v_add_co_u32_e64 v14, s[0:1], s18, v2
	v_addc_co_u32_e64 v15, s[0:1], v0, v3, s[0:1]
	global_load_ubyte v13, v[14:15], off
.LBB5_5:                                ;   in Loop: Header=BB5_3 Depth=1
	s_or_b64 exec, exec, s[2:3]
	v_add_u32_e32 v0, 16, v4
	v_cmp_gt_u32_e64 s[0:1], s9, v0
	s_and_b64 s[2:3], vcc, s[0:1]
	s_and_saveexec_b64 s[0:1], s[2:3]
	s_cbranch_execz .LBB5_7
; %bb.6:                                ;   in Loop: Header=BB5_3 Depth=1
	v_mov_b32_e32 v0, s22
	v_add_co_u32_e32 v2, vcc, s21, v2
	v_addc_co_u32_e32 v3, vcc, v0, v3, vcc
	global_load_ubyte v12, v[2:3], off
.LBB5_7:                                ;   in Loop: Header=BB5_3 Depth=1
	s_or_b64 exec, exec, s[0:1]
	v_add_u32_e32 v0, s27, v7
	v_or_b32_e32 v14, s28, v6
	v_mad_u64_u32 v[4:5], s[0:1], s26, v11, v[0:1]
	v_mov_b32_e32 v15, v1
	v_mad_u64_u32 v[2:3], s[0:1], v4, s8, v[14:15]
	v_mov_b32_e32 v4, v3
	s_waitcnt vmcnt(0)
	ds_write_b8 v8, v13
	ds_write_b8 v8, v12 offset:320
	s_waitcnt lgkmcnt(0)
	s_barrier
	v_mad_u64_u32 v[16:17], s[0:1], v5, s8, v[4:5]
	ds_read_u8 v4, v9 offset:320
	v_cmp_gt_u32_e32 vcc, s8, v14
	v_cmp_gt_u32_e64 s[0:1], s9, v0
	v_mov_b32_e32 v3, v16
	s_and_b64 s[0:1], s[0:1], vcc
	s_and_saveexec_b64 s[2:3], s[0:1]
	s_cbranch_execz .LBB5_9
; %bb.8:                                ;   in Loop: Header=BB5_3 Depth=1
	ds_read_u8 v16, v9
	v_mov_b32_e32 v5, s17
	v_add_co_u32_e64 v14, s[0:1], s16, v2
	v_addc_co_u32_e64 v15, s[0:1], v5, v3, s[0:1]
	s_waitcnt lgkmcnt(0)
	global_store_byte v[14:15], v16, off
.LBB5_9:                                ;   in Loop: Header=BB5_3 Depth=1
	s_or_b64 exec, exec, s[2:3]
	v_add_u32_e32 v0, 16, v0
	v_cmp_gt_u32_e64 s[0:1], s9, v0
	s_and_b64 s[2:3], s[0:1], vcc
	s_and_saveexec_b64 s[0:1], s[2:3]
	s_cbranch_execz .LBB5_2
; %bb.10:                               ;   in Loop: Header=BB5_3 Depth=1
	v_mov_b32_e32 v0, s20
	v_add_co_u32_e32 v2, vcc, s7, v2
	v_addc_co_u32_e32 v3, vcc, v0, v3, vcc
	s_waitcnt lgkmcnt(0)
	global_store_byte v[2:3], v4, off
	s_branch .LBB5_2
.LBB5_11:
	s_endpgm
	.section	.rodata,"a",@progbits
	.p2align	6, 0x0
	.amdhsa_kernel batched_transpose_32x16_byte
		.amdhsa_group_segment_fixed_size 640
		.amdhsa_private_segment_fixed_size 0
		.amdhsa_kernarg_size 48
		.amdhsa_user_sgpr_count 6
		.amdhsa_user_sgpr_private_segment_buffer 1
		.amdhsa_user_sgpr_dispatch_ptr 0
		.amdhsa_user_sgpr_queue_ptr 0
		.amdhsa_user_sgpr_kernarg_segment_ptr 1
		.amdhsa_user_sgpr_dispatch_id 0
		.amdhsa_user_sgpr_flat_scratch_init 0
		.amdhsa_user_sgpr_kernarg_preload_length 0
		.amdhsa_user_sgpr_kernarg_preload_offset 0
		.amdhsa_user_sgpr_private_segment_size 0
		.amdhsa_uses_dynamic_stack 0
		.amdhsa_system_sgpr_private_segment_wavefront_offset 0
		.amdhsa_system_sgpr_workgroup_id_x 1
		.amdhsa_system_sgpr_workgroup_id_y 0
		.amdhsa_system_sgpr_workgroup_id_z 0
		.amdhsa_system_sgpr_workgroup_info 0
		.amdhsa_system_vgpr_workitem_id 0
		.amdhsa_next_free_vgpr 18
		.amdhsa_next_free_sgpr 29
		.amdhsa_accum_offset 20
		.amdhsa_reserve_vcc 1
		.amdhsa_reserve_flat_scratch 0
		.amdhsa_float_round_mode_32 0
		.amdhsa_float_round_mode_16_64 0
		.amdhsa_float_denorm_mode_32 3
		.amdhsa_float_denorm_mode_16_64 3
		.amdhsa_dx10_clamp 1
		.amdhsa_ieee_mode 1
		.amdhsa_fp16_overflow 0
		.amdhsa_tg_split 0
		.amdhsa_exception_fp_ieee_invalid_op 0
		.amdhsa_exception_fp_denorm_src 0
		.amdhsa_exception_fp_ieee_div_zero 0
		.amdhsa_exception_fp_ieee_overflow 0
		.amdhsa_exception_fp_ieee_underflow 0
		.amdhsa_exception_fp_ieee_inexact 0
		.amdhsa_exception_int_div_zero 0
	.end_amdhsa_kernel
	.text
.Lfunc_end5:
	.size	batched_transpose_32x16_byte, .Lfunc_end5-batched_transpose_32x16_byte
                                        ; -- End function
	.section	.AMDGPU.csdata,"",@progbits
; Kernel info:
; codeLenInByte = 548
; NumSgprs: 33
; NumVgprs: 18
; NumAgprs: 0
; TotalNumVgprs: 18
; ScratchSize: 0
; MemoryBound: 0
; FloatMode: 240
; IeeeMode: 1
; LDSByteSize: 640 bytes/workgroup (compile time only)
; SGPRBlocks: 4
; VGPRBlocks: 2
; NumSGPRsForWavesPerEU: 33
; NumVGPRsForWavesPerEU: 18
; AccumOffset: 20
; Occupancy: 8
; WaveLimiterHint : 0
; COMPUTE_PGM_RSRC2:SCRATCH_EN: 0
; COMPUTE_PGM_RSRC2:USER_SGPR: 6
; COMPUTE_PGM_RSRC2:TRAP_HANDLER: 0
; COMPUTE_PGM_RSRC2:TGID_X_EN: 1
; COMPUTE_PGM_RSRC2:TGID_Y_EN: 0
; COMPUTE_PGM_RSRC2:TGID_Z_EN: 0
; COMPUTE_PGM_RSRC2:TIDIG_COMP_CNT: 0
; COMPUTE_PGM_RSRC3_GFX90A:ACCUM_OFFSET: 4
; COMPUTE_PGM_RSRC3_GFX90A:TG_SPLIT: 0
	.text
	.protected	batched_transpose_16x32_dword ; -- Begin function batched_transpose_16x32_dword
	.globl	batched_transpose_16x32_dword
	.p2align	8
	.type	batched_transpose_16x32_dword,@function
batched_transpose_16x32_dword:          ; @batched_transpose_16x32_dword
; %bb.0:
	s_load_dwordx8 s[8:15], s[4:5], 0x10
	s_waitcnt lgkmcnt(0)
	s_cmp_ge_u32 s6, s11
	s_cbranch_scc1 .LBB6_11
; %bb.1:
	s_load_dwordx4 s[16:19], s[4:5], 0x0
	s_add_i32 s0, s8, 31
	s_lshr_b32 s4, s0, 5
	s_mov_b32 s1, 0
	s_lshl_b32 s0, s9, 4
	s_add_i32 s2, s9, 15
	s_lshl_b64 s[0:1], s[0:1], 2
	s_waitcnt lgkmcnt(0)
	s_add_u32 s7, s18, s0
	v_lshrrev_b32_e32 v7, 4, v0
	s_addc_u32 s20, s19, s1
	v_and_b32_e32 v6, 15, v0
	v_mul_u32_u24_e32 v0, 17, v7
	s_add_u32 s21, s16, 64
	v_add_lshl_u32 v8, v0, v6, 2
	v_mul_u32_u24_e32 v0, 17, v6
	s_addc_u32 s22, s17, 0
	s_and_b32 s0, s2, -16
	s_mov_b32 s5, s9
	v_add_lshl_u32 v9, v0, v7, 2
	s_sub_i32 s23, 0, s0
	s_lshl_b32 s24, s6, 4
	s_lshl_b32 s25, s10, 4
	v_mov_b32_e32 v10, s8
	v_mov_b32_e32 v11, s9
	;; [unrolled: 1-line block ×3, first 2 shown]
                                        ; implicit-def: $vgpr12
                                        ; implicit-def: $vgpr13
	s_branch .LBB6_3
.LBB6_2:                                ;   in Loop: Header=BB6_3 Depth=1
	s_or_b64 exec, exec, s[0:1]
	s_add_i32 s6, s6, s10
	s_add_i32 s24, s24, s25
	s_cmp_lt_u32 s6, s11
	s_cbranch_scc0 .LBB6_11
.LBB6_3:                                ; =>This Inner Loop Header: Depth=1
	s_mul_hi_u32 s0, s14, s6
	s_add_i32 s0, s6, s0
	s_lshr_b32 s0, s0, s15
	s_mul_hi_u32 s1, s0, s12
	s_add_i32 s1, s0, s1
	s_lshr_b32 s26, s1, s13
	s_mul_i32 s1, s26, s4
	s_sub_i32 s1, s0, s1
	s_mul_i32 s27, s23, s0
	s_lshl_b32 s28, s1, 5
	s_add_i32 s27, s27, s24
	v_or_b32_e32 v0, s28, v7
	v_add_u32_e32 v2, s27, v6
	v_mad_u64_u32 v[4:5], s[0:1], s26, v10, v[0:1]
	s_waitcnt lgkmcnt(0)
	v_mov_b32_e32 v3, v1
	v_mad_u64_u32 v[14:15], s[0:1], v4, s5, v[2:3]
	v_mov_b32_e32 v4, v15
	v_mad_u64_u32 v[4:5], s[0:1], v5, s5, v[4:5]
	v_mov_b32_e32 v15, v4
	v_cmp_gt_u32_e64 s[0:1], s8, v0
	v_cmp_gt_u32_e32 vcc, s9, v2
	s_and_b64 s[0:1], s[0:1], vcc
	v_lshlrev_b64 v[2:3], 2, v[14:15]
	s_barrier
	s_and_saveexec_b64 s[2:3], s[0:1]
	s_cbranch_execz .LBB6_5
; %bb.4:                                ;   in Loop: Header=BB6_3 Depth=1
	v_mov_b32_e32 v5, s19
	v_add_co_u32_e64 v4, s[0:1], s18, v2
	v_addc_co_u32_e64 v5, s[0:1], v5, v3, s[0:1]
	global_load_dword v13, v[4:5], off
.LBB6_5:                                ;   in Loop: Header=BB6_3 Depth=1
	s_or_b64 exec, exec, s[2:3]
	v_add_u32_e32 v0, 16, v0
	v_cmp_gt_u32_e64 s[0:1], s8, v0
	s_and_b64 s[2:3], s[0:1], vcc
	s_and_saveexec_b64 s[0:1], s[2:3]
	s_cbranch_execz .LBB6_7
; %bb.6:                                ;   in Loop: Header=BB6_3 Depth=1
	v_mov_b32_e32 v0, s20
	v_add_co_u32_e32 v2, vcc, s7, v2
	v_addc_co_u32_e32 v3, vcc, v0, v3, vcc
	global_load_dword v12, v[2:3], off
.LBB6_7:                                ;   in Loop: Header=BB6_3 Depth=1
	s_or_b64 exec, exec, s[0:1]
	v_add_u32_e32 v0, s27, v7
	v_or_b32_e32 v2, s28, v6
	v_mad_u64_u32 v[4:5], s[0:1], s26, v11, v[0:1]
	v_mov_b32_e32 v3, v1
	s_waitcnt vmcnt(0)
	ds_write_b32 v8, v13
	ds_write_b32 v8, v12 offset:1088
	s_waitcnt lgkmcnt(0)
	s_barrier
	v_mad_u64_u32 v[14:15], s[0:1], v4, s8, v[2:3]
	ds_read_b32 v3, v9 offset:1088
	v_mov_b32_e32 v4, v15
	v_mad_u64_u32 v[4:5], s[0:1], v5, s8, v[4:5]
	v_mov_b32_e32 v15, v4
	v_cmp_gt_u32_e64 s[0:1], s8, v2
	v_cmp_gt_u32_e32 vcc, s9, v0
	s_and_b64 s[0:1], vcc, s[0:1]
	v_lshlrev_b64 v[4:5], 2, v[14:15]
	s_and_saveexec_b64 s[2:3], s[0:1]
	s_cbranch_execz .LBB6_9
; %bb.8:                                ;   in Loop: Header=BB6_3 Depth=1
	ds_read_b32 v16, v9
	v_mov_b32_e32 v0, s17
	v_add_co_u32_e64 v14, s[0:1], s16, v4
	v_addc_co_u32_e64 v15, s[0:1], v0, v5, s[0:1]
	s_waitcnt lgkmcnt(0)
	global_store_dword v[14:15], v16, off
.LBB6_9:                                ;   in Loop: Header=BB6_3 Depth=1
	s_or_b64 exec, exec, s[2:3]
	v_or_b32_e32 v0, 16, v2
	v_cmp_gt_u32_e64 s[0:1], s8, v0
	s_and_b64 s[2:3], vcc, s[0:1]
	s_and_saveexec_b64 s[0:1], s[2:3]
	s_cbranch_execz .LBB6_2
; %bb.10:                               ;   in Loop: Header=BB6_3 Depth=1
	v_mov_b32_e32 v0, s22
	v_add_co_u32_e32 v4, vcc, s21, v4
	v_addc_co_u32_e32 v5, vcc, v0, v5, vcc
	s_waitcnt lgkmcnt(0)
	global_store_dword v[4:5], v3, off
	s_branch .LBB6_2
.LBB6_11:
	s_endpgm
	.section	.rodata,"a",@progbits
	.p2align	6, 0x0
	.amdhsa_kernel batched_transpose_16x32_dword
		.amdhsa_group_segment_fixed_size 2176
		.amdhsa_private_segment_fixed_size 0
		.amdhsa_kernarg_size 48
		.amdhsa_user_sgpr_count 6
		.amdhsa_user_sgpr_private_segment_buffer 1
		.amdhsa_user_sgpr_dispatch_ptr 0
		.amdhsa_user_sgpr_queue_ptr 0
		.amdhsa_user_sgpr_kernarg_segment_ptr 1
		.amdhsa_user_sgpr_dispatch_id 0
		.amdhsa_user_sgpr_flat_scratch_init 0
		.amdhsa_user_sgpr_kernarg_preload_length 0
		.amdhsa_user_sgpr_kernarg_preload_offset 0
		.amdhsa_user_sgpr_private_segment_size 0
		.amdhsa_uses_dynamic_stack 0
		.amdhsa_system_sgpr_private_segment_wavefront_offset 0
		.amdhsa_system_sgpr_workgroup_id_x 1
		.amdhsa_system_sgpr_workgroup_id_y 0
		.amdhsa_system_sgpr_workgroup_id_z 0
		.amdhsa_system_sgpr_workgroup_info 0
		.amdhsa_system_vgpr_workitem_id 0
		.amdhsa_next_free_vgpr 17
		.amdhsa_next_free_sgpr 29
		.amdhsa_accum_offset 20
		.amdhsa_reserve_vcc 1
		.amdhsa_reserve_flat_scratch 0
		.amdhsa_float_round_mode_32 0
		.amdhsa_float_round_mode_16_64 0
		.amdhsa_float_denorm_mode_32 3
		.amdhsa_float_denorm_mode_16_64 3
		.amdhsa_dx10_clamp 1
		.amdhsa_ieee_mode 1
		.amdhsa_fp16_overflow 0
		.amdhsa_tg_split 0
		.amdhsa_exception_fp_ieee_invalid_op 0
		.amdhsa_exception_fp_denorm_src 0
		.amdhsa_exception_fp_ieee_div_zero 0
		.amdhsa_exception_fp_ieee_overflow 0
		.amdhsa_exception_fp_ieee_underflow 0
		.amdhsa_exception_fp_ieee_inexact 0
		.amdhsa_exception_int_div_zero 0
	.end_amdhsa_kernel
	.text
.Lfunc_end6:
	.size	batched_transpose_16x32_dword, .Lfunc_end6-batched_transpose_16x32_dword
                                        ; -- End function
	.section	.AMDGPU.csdata,"",@progbits
; Kernel info:
; codeLenInByte = 580
; NumSgprs: 33
; NumVgprs: 17
; NumAgprs: 0
; TotalNumVgprs: 17
; ScratchSize: 0
; MemoryBound: 0
; FloatMode: 240
; IeeeMode: 1
; LDSByteSize: 2176 bytes/workgroup (compile time only)
; SGPRBlocks: 4
; VGPRBlocks: 2
; NumSGPRsForWavesPerEU: 33
; NumVGPRsForWavesPerEU: 17
; AccumOffset: 20
; Occupancy: 8
; WaveLimiterHint : 0
; COMPUTE_PGM_RSRC2:SCRATCH_EN: 0
; COMPUTE_PGM_RSRC2:USER_SGPR: 6
; COMPUTE_PGM_RSRC2:TRAP_HANDLER: 0
; COMPUTE_PGM_RSRC2:TGID_X_EN: 1
; COMPUTE_PGM_RSRC2:TGID_Y_EN: 0
; COMPUTE_PGM_RSRC2:TGID_Z_EN: 0
; COMPUTE_PGM_RSRC2:TIDIG_COMP_CNT: 0
; COMPUTE_PGM_RSRC3_GFX90A:ACCUM_OFFSET: 4
; COMPUTE_PGM_RSRC3_GFX90A:TG_SPLIT: 0
	.text
	.protected	batched_transpose_16x32_half ; -- Begin function batched_transpose_16x32_half
	.globl	batched_transpose_16x32_half
	.p2align	8
	.type	batched_transpose_16x32_half,@function
batched_transpose_16x32_half:           ; @batched_transpose_16x32_half
; %bb.0:
	s_load_dwordx8 s[8:15], s[4:5], 0x10
	s_waitcnt lgkmcnt(0)
	s_cmp_ge_u32 s6, s11
	s_cbranch_scc1 .LBB7_11
; %bb.1:
	s_load_dwordx4 s[16:19], s[4:5], 0x0
	s_add_i32 s0, s8, 31
	s_lshr_b32 s4, s0, 5
	s_mov_b32 s1, 0
	s_lshl_b32 s0, s9, 4
	s_add_i32 s2, s9, 15
	s_lshl_b64 s[0:1], s[0:1], 1
	s_waitcnt lgkmcnt(0)
	s_add_u32 s7, s18, s0
	v_lshrrev_b32_e32 v7, 4, v0
	s_addc_u32 s20, s19, s1
	v_and_b32_e32 v6, 15, v0
	v_mul_u32_u24_e32 v0, 18, v7
	s_add_u32 s21, s16, 32
	v_add_lshl_u32 v8, v0, v6, 1
	v_mul_u32_u24_e32 v0, 18, v6
	s_addc_u32 s22, s17, 0
	s_and_b32 s0, s2, -16
	s_mov_b32 s5, s9
	v_add_lshl_u32 v9, v0, v7, 1
	s_sub_i32 s23, 0, s0
	s_lshl_b32 s24, s6, 4
	s_lshl_b32 s25, s10, 4
	v_mov_b32_e32 v10, s8
	v_mov_b32_e32 v11, s9
	;; [unrolled: 1-line block ×3, first 2 shown]
                                        ; implicit-def: $vgpr12
                                        ; implicit-def: $vgpr13
	s_branch .LBB7_3
.LBB7_2:                                ;   in Loop: Header=BB7_3 Depth=1
	s_or_b64 exec, exec, s[0:1]
	s_add_i32 s6, s6, s10
	s_add_i32 s24, s24, s25
	s_cmp_lt_u32 s6, s11
	s_cbranch_scc0 .LBB7_11
.LBB7_3:                                ; =>This Inner Loop Header: Depth=1
	s_mul_hi_u32 s0, s14, s6
	s_add_i32 s0, s6, s0
	s_lshr_b32 s0, s0, s15
	s_mul_hi_u32 s1, s0, s12
	s_add_i32 s1, s0, s1
	s_lshr_b32 s26, s1, s13
	s_mul_i32 s1, s26, s4
	s_sub_i32 s1, s0, s1
	s_mul_i32 s27, s23, s0
	s_lshl_b32 s28, s1, 5
	s_add_i32 s27, s27, s24
	v_or_b32_e32 v0, s28, v7
	v_add_u32_e32 v2, s27, v6
	v_mad_u64_u32 v[4:5], s[0:1], s26, v10, v[0:1]
	s_waitcnt lgkmcnt(0)
	v_mov_b32_e32 v3, v1
	v_mad_u64_u32 v[14:15], s[0:1], v4, s5, v[2:3]
	v_mov_b32_e32 v4, v15
	v_mad_u64_u32 v[4:5], s[0:1], v5, s5, v[4:5]
	v_mov_b32_e32 v15, v4
	v_cmp_gt_u32_e64 s[0:1], s8, v0
	v_cmp_gt_u32_e32 vcc, s9, v2
	s_and_b64 s[0:1], s[0:1], vcc
	v_lshlrev_b64 v[2:3], 1, v[14:15]
	s_barrier
	s_and_saveexec_b64 s[2:3], s[0:1]
	s_cbranch_execz .LBB7_5
; %bb.4:                                ;   in Loop: Header=BB7_3 Depth=1
	v_mov_b32_e32 v5, s19
	v_add_co_u32_e64 v4, s[0:1], s18, v2
	v_addc_co_u32_e64 v5, s[0:1], v5, v3, s[0:1]
	global_load_ushort v13, v[4:5], off
.LBB7_5:                                ;   in Loop: Header=BB7_3 Depth=1
	s_or_b64 exec, exec, s[2:3]
	v_add_u32_e32 v0, 16, v0
	v_cmp_gt_u32_e64 s[0:1], s8, v0
	s_and_b64 s[2:3], s[0:1], vcc
	s_and_saveexec_b64 s[0:1], s[2:3]
	s_cbranch_execz .LBB7_7
; %bb.6:                                ;   in Loop: Header=BB7_3 Depth=1
	v_mov_b32_e32 v0, s20
	v_add_co_u32_e32 v2, vcc, s7, v2
	v_addc_co_u32_e32 v3, vcc, v0, v3, vcc
	global_load_ushort v12, v[2:3], off
.LBB7_7:                                ;   in Loop: Header=BB7_3 Depth=1
	s_or_b64 exec, exec, s[0:1]
	v_add_u32_e32 v0, s27, v7
	v_or_b32_e32 v2, s28, v6
	v_mad_u64_u32 v[4:5], s[0:1], s26, v11, v[0:1]
	v_mov_b32_e32 v3, v1
	s_waitcnt vmcnt(0)
	ds_write_b16 v8, v13
	ds_write_b16 v8, v12 offset:576
	s_waitcnt lgkmcnt(0)
	s_barrier
	v_mad_u64_u32 v[14:15], s[0:1], v4, s8, v[2:3]
	ds_read_u16 v3, v9 offset:576
	v_mov_b32_e32 v4, v15
	v_mad_u64_u32 v[4:5], s[0:1], v5, s8, v[4:5]
	v_mov_b32_e32 v15, v4
	v_cmp_gt_u32_e64 s[0:1], s8, v2
	v_cmp_gt_u32_e32 vcc, s9, v0
	s_and_b64 s[0:1], vcc, s[0:1]
	v_lshlrev_b64 v[4:5], 1, v[14:15]
	s_and_saveexec_b64 s[2:3], s[0:1]
	s_cbranch_execz .LBB7_9
; %bb.8:                                ;   in Loop: Header=BB7_3 Depth=1
	ds_read_u16 v16, v9
	v_mov_b32_e32 v0, s17
	v_add_co_u32_e64 v14, s[0:1], s16, v4
	v_addc_co_u32_e64 v15, s[0:1], v0, v5, s[0:1]
	s_waitcnt lgkmcnt(0)
	global_store_short v[14:15], v16, off
.LBB7_9:                                ;   in Loop: Header=BB7_3 Depth=1
	s_or_b64 exec, exec, s[2:3]
	v_or_b32_e32 v0, 16, v2
	v_cmp_gt_u32_e64 s[0:1], s8, v0
	s_and_b64 s[2:3], vcc, s[0:1]
	s_and_saveexec_b64 s[0:1], s[2:3]
	s_cbranch_execz .LBB7_2
; %bb.10:                               ;   in Loop: Header=BB7_3 Depth=1
	v_mov_b32_e32 v0, s22
	v_add_co_u32_e32 v4, vcc, s21, v4
	v_addc_co_u32_e32 v5, vcc, v0, v5, vcc
	s_waitcnt lgkmcnt(0)
	global_store_short v[4:5], v3, off
	s_branch .LBB7_2
.LBB7_11:
	s_endpgm
	.section	.rodata,"a",@progbits
	.p2align	6, 0x0
	.amdhsa_kernel batched_transpose_16x32_half
		.amdhsa_group_segment_fixed_size 1152
		.amdhsa_private_segment_fixed_size 0
		.amdhsa_kernarg_size 48
		.amdhsa_user_sgpr_count 6
		.amdhsa_user_sgpr_private_segment_buffer 1
		.amdhsa_user_sgpr_dispatch_ptr 0
		.amdhsa_user_sgpr_queue_ptr 0
		.amdhsa_user_sgpr_kernarg_segment_ptr 1
		.amdhsa_user_sgpr_dispatch_id 0
		.amdhsa_user_sgpr_flat_scratch_init 0
		.amdhsa_user_sgpr_kernarg_preload_length 0
		.amdhsa_user_sgpr_kernarg_preload_offset 0
		.amdhsa_user_sgpr_private_segment_size 0
		.amdhsa_uses_dynamic_stack 0
		.amdhsa_system_sgpr_private_segment_wavefront_offset 0
		.amdhsa_system_sgpr_workgroup_id_x 1
		.amdhsa_system_sgpr_workgroup_id_y 0
		.amdhsa_system_sgpr_workgroup_id_z 0
		.amdhsa_system_sgpr_workgroup_info 0
		.amdhsa_system_vgpr_workitem_id 0
		.amdhsa_next_free_vgpr 17
		.amdhsa_next_free_sgpr 29
		.amdhsa_accum_offset 20
		.amdhsa_reserve_vcc 1
		.amdhsa_reserve_flat_scratch 0
		.amdhsa_float_round_mode_32 0
		.amdhsa_float_round_mode_16_64 0
		.amdhsa_float_denorm_mode_32 3
		.amdhsa_float_denorm_mode_16_64 3
		.amdhsa_dx10_clamp 1
		.amdhsa_ieee_mode 1
		.amdhsa_fp16_overflow 0
		.amdhsa_tg_split 0
		.amdhsa_exception_fp_ieee_invalid_op 0
		.amdhsa_exception_fp_denorm_src 0
		.amdhsa_exception_fp_ieee_div_zero 0
		.amdhsa_exception_fp_ieee_overflow 0
		.amdhsa_exception_fp_ieee_underflow 0
		.amdhsa_exception_fp_ieee_inexact 0
		.amdhsa_exception_int_div_zero 0
	.end_amdhsa_kernel
	.text
.Lfunc_end7:
	.size	batched_transpose_16x32_half, .Lfunc_end7-batched_transpose_16x32_half
                                        ; -- End function
	.section	.AMDGPU.csdata,"",@progbits
; Kernel info:
; codeLenInByte = 580
; NumSgprs: 33
; NumVgprs: 17
; NumAgprs: 0
; TotalNumVgprs: 17
; ScratchSize: 0
; MemoryBound: 0
; FloatMode: 240
; IeeeMode: 1
; LDSByteSize: 1152 bytes/workgroup (compile time only)
; SGPRBlocks: 4
; VGPRBlocks: 2
; NumSGPRsForWavesPerEU: 33
; NumVGPRsForWavesPerEU: 17
; AccumOffset: 20
; Occupancy: 8
; WaveLimiterHint : 0
; COMPUTE_PGM_RSRC2:SCRATCH_EN: 0
; COMPUTE_PGM_RSRC2:USER_SGPR: 6
; COMPUTE_PGM_RSRC2:TRAP_HANDLER: 0
; COMPUTE_PGM_RSRC2:TGID_X_EN: 1
; COMPUTE_PGM_RSRC2:TGID_Y_EN: 0
; COMPUTE_PGM_RSRC2:TGID_Z_EN: 0
; COMPUTE_PGM_RSRC2:TIDIG_COMP_CNT: 0
; COMPUTE_PGM_RSRC3_GFX90A:ACCUM_OFFSET: 4
; COMPUTE_PGM_RSRC3_GFX90A:TG_SPLIT: 0
	.text
	.protected	batched_transpose_16x32_byte ; -- Begin function batched_transpose_16x32_byte
	.globl	batched_transpose_16x32_byte
	.p2align	8
	.type	batched_transpose_16x32_byte,@function
batched_transpose_16x32_byte:           ; @batched_transpose_16x32_byte
; %bb.0:
	s_load_dwordx8 s[8:15], s[4:5], 0x10
	s_waitcnt lgkmcnt(0)
	s_cmp_ge_u32 s6, s11
	s_cbranch_scc1 .LBB8_11
; %bb.1:
	s_load_dwordx4 s[16:19], s[4:5], 0x0
	s_add_i32 s0, s8, 31
	s_lshr_b32 s4, s0, 5
	s_add_i32 s0, s9, 15
	s_lshl_b32 s1, s9, 4
	s_waitcnt lgkmcnt(0)
	s_add_u32 s7, s18, s1
	s_addc_u32 s20, s19, 0
	s_add_u32 s21, s16, 16
	v_and_b32_e32 v6, 15, v0
	v_lshrrev_b32_e32 v7, 4, v0
	s_addc_u32 s22, s17, 0
	s_and_b32 s0, s0, -16
	s_mov_b32 s5, s9
	v_mad_u32_u24 v8, v7, 20, v6
	v_mad_u32_u24 v9, v6, 20, v7
	s_sub_i32 s23, 0, s0
	s_lshl_b32 s24, s6, 4
	s_lshl_b32 s25, s10, 4
	v_mov_b32_e32 v10, s8
	v_mov_b32_e32 v11, s9
	;; [unrolled: 1-line block ×3, first 2 shown]
                                        ; implicit-def: $vgpr12
                                        ; implicit-def: $vgpr13
	s_branch .LBB8_3
.LBB8_2:                                ;   in Loop: Header=BB8_3 Depth=1
	s_or_b64 exec, exec, s[0:1]
	s_add_i32 s6, s6, s10
	s_add_i32 s24, s24, s25
	s_cmp_lt_u32 s6, s11
	s_cbranch_scc0 .LBB8_11
.LBB8_3:                                ; =>This Inner Loop Header: Depth=1
	s_mul_hi_u32 s0, s14, s6
	s_add_i32 s0, s6, s0
	s_lshr_b32 s0, s0, s15
	s_mul_hi_u32 s1, s0, s12
	s_add_i32 s1, s0, s1
	s_lshr_b32 s26, s1, s13
	s_mul_i32 s1, s26, s4
	s_sub_i32 s1, s0, s1
	s_mul_i32 s27, s23, s0
	s_lshl_b32 s28, s1, 5
	s_add_i32 s27, s27, s24
	v_or_b32_e32 v0, s28, v7
	v_add_u32_e32 v4, s27, v6
	v_mad_u64_u32 v[14:15], s[0:1], s26, v10, v[0:1]
	s_waitcnt lgkmcnt(0)
	v_mov_b32_e32 v5, v1
	v_mad_u64_u32 v[2:3], s[0:1], v14, s5, v[4:5]
	v_mov_b32_e32 v14, v3
	v_mad_u64_u32 v[14:15], s[0:1], v15, s5, v[14:15]
	v_cmp_gt_u32_e64 s[0:1], s8, v0
	v_cmp_gt_u32_e32 vcc, s9, v4
	v_mov_b32_e32 v3, v14
	s_and_b64 s[0:1], s[0:1], vcc
	s_barrier
	s_and_saveexec_b64 s[2:3], s[0:1]
	s_cbranch_execz .LBB8_5
; %bb.4:                                ;   in Loop: Header=BB8_3 Depth=1
	v_mov_b32_e32 v5, s19
	v_add_co_u32_e64 v4, s[0:1], s18, v2
	v_addc_co_u32_e64 v5, s[0:1], v5, v3, s[0:1]
	global_load_ubyte v13, v[4:5], off
.LBB8_5:                                ;   in Loop: Header=BB8_3 Depth=1
	s_or_b64 exec, exec, s[2:3]
	v_add_u32_e32 v0, 16, v0
	v_cmp_gt_u32_e64 s[0:1], s8, v0
	s_and_b64 s[2:3], s[0:1], vcc
	s_and_saveexec_b64 s[0:1], s[2:3]
	s_cbranch_execz .LBB8_7
; %bb.6:                                ;   in Loop: Header=BB8_3 Depth=1
	v_mov_b32_e32 v0, s20
	v_add_co_u32_e32 v2, vcc, s7, v2
	v_addc_co_u32_e32 v3, vcc, v0, v3, vcc
	global_load_ubyte v12, v[2:3], off
.LBB8_7:                                ;   in Loop: Header=BB8_3 Depth=1
	s_or_b64 exec, exec, s[0:1]
	v_add_u32_e32 v0, s27, v7
	v_or_b32_e32 v4, s28, v6
	v_mad_u64_u32 v[14:15], s[0:1], s26, v11, v[0:1]
	v_mov_b32_e32 v5, v1
	s_waitcnt vmcnt(0)
	ds_write_b8 v8, v13
	ds_write_b8 v8, v12 offset:320
	s_waitcnt lgkmcnt(0)
	s_barrier
	v_mad_u64_u32 v[2:3], s[0:1], v14, s8, v[4:5]
	ds_read_u8 v5, v9 offset:320
	v_mov_b32_e32 v14, v3
	v_mad_u64_u32 v[14:15], s[0:1], v15, s8, v[14:15]
	v_cmp_gt_u32_e64 s[0:1], s8, v4
	v_cmp_gt_u32_e32 vcc, s9, v0
	v_mov_b32_e32 v3, v14
	s_and_b64 s[0:1], vcc, s[0:1]
	s_and_saveexec_b64 s[2:3], s[0:1]
	s_cbranch_execz .LBB8_9
; %bb.8:                                ;   in Loop: Header=BB8_3 Depth=1
	ds_read_u8 v16, v9
	v_mov_b32_e32 v0, s17
	v_add_co_u32_e64 v14, s[0:1], s16, v2
	v_addc_co_u32_e64 v15, s[0:1], v0, v3, s[0:1]
	s_waitcnt lgkmcnt(0)
	global_store_byte v[14:15], v16, off
.LBB8_9:                                ;   in Loop: Header=BB8_3 Depth=1
	s_or_b64 exec, exec, s[2:3]
	v_or_b32_e32 v0, 16, v4
	v_cmp_gt_u32_e64 s[0:1], s8, v0
	s_and_b64 s[2:3], vcc, s[0:1]
	s_and_saveexec_b64 s[0:1], s[2:3]
	s_cbranch_execz .LBB8_2
; %bb.10:                               ;   in Loop: Header=BB8_3 Depth=1
	v_mov_b32_e32 v0, s22
	v_add_co_u32_e32 v2, vcc, s21, v2
	v_addc_co_u32_e32 v3, vcc, v0, v3, vcc
	s_waitcnt lgkmcnt(0)
	global_store_byte v[2:3], v5, off
	s_branch .LBB8_2
.LBB8_11:
	s_endpgm
	.section	.rodata,"a",@progbits
	.p2align	6, 0x0
	.amdhsa_kernel batched_transpose_16x32_byte
		.amdhsa_group_segment_fixed_size 640
		.amdhsa_private_segment_fixed_size 0
		.amdhsa_kernarg_size 48
		.amdhsa_user_sgpr_count 6
		.amdhsa_user_sgpr_private_segment_buffer 1
		.amdhsa_user_sgpr_dispatch_ptr 0
		.amdhsa_user_sgpr_queue_ptr 0
		.amdhsa_user_sgpr_kernarg_segment_ptr 1
		.amdhsa_user_sgpr_dispatch_id 0
		.amdhsa_user_sgpr_flat_scratch_init 0
		.amdhsa_user_sgpr_kernarg_preload_length 0
		.amdhsa_user_sgpr_kernarg_preload_offset 0
		.amdhsa_user_sgpr_private_segment_size 0
		.amdhsa_uses_dynamic_stack 0
		.amdhsa_system_sgpr_private_segment_wavefront_offset 0
		.amdhsa_system_sgpr_workgroup_id_x 1
		.amdhsa_system_sgpr_workgroup_id_y 0
		.amdhsa_system_sgpr_workgroup_id_z 0
		.amdhsa_system_sgpr_workgroup_info 0
		.amdhsa_system_vgpr_workitem_id 0
		.amdhsa_next_free_vgpr 17
		.amdhsa_next_free_sgpr 29
		.amdhsa_accum_offset 20
		.amdhsa_reserve_vcc 1
		.amdhsa_reserve_flat_scratch 0
		.amdhsa_float_round_mode_32 0
		.amdhsa_float_round_mode_16_64 0
		.amdhsa_float_denorm_mode_32 3
		.amdhsa_float_denorm_mode_16_64 3
		.amdhsa_dx10_clamp 1
		.amdhsa_ieee_mode 1
		.amdhsa_fp16_overflow 0
		.amdhsa_tg_split 0
		.amdhsa_exception_fp_ieee_invalid_op 0
		.amdhsa_exception_fp_denorm_src 0
		.amdhsa_exception_fp_ieee_div_zero 0
		.amdhsa_exception_fp_ieee_overflow 0
		.amdhsa_exception_fp_ieee_underflow 0
		.amdhsa_exception_fp_ieee_inexact 0
		.amdhsa_exception_int_div_zero 0
	.end_amdhsa_kernel
	.text
.Lfunc_end8:
	.size	batched_transpose_16x32_byte, .Lfunc_end8-batched_transpose_16x32_byte
                                        ; -- End function
	.section	.AMDGPU.csdata,"",@progbits
; Kernel info:
; codeLenInByte = 548
; NumSgprs: 33
; NumVgprs: 17
; NumAgprs: 0
; TotalNumVgprs: 17
; ScratchSize: 0
; MemoryBound: 0
; FloatMode: 240
; IeeeMode: 1
; LDSByteSize: 640 bytes/workgroup (compile time only)
; SGPRBlocks: 4
; VGPRBlocks: 2
; NumSGPRsForWavesPerEU: 33
; NumVGPRsForWavesPerEU: 17
; AccumOffset: 20
; Occupancy: 8
; WaveLimiterHint : 0
; COMPUTE_PGM_RSRC2:SCRATCH_EN: 0
; COMPUTE_PGM_RSRC2:USER_SGPR: 6
; COMPUTE_PGM_RSRC2:TRAP_HANDLER: 0
; COMPUTE_PGM_RSRC2:TGID_X_EN: 1
; COMPUTE_PGM_RSRC2:TGID_Y_EN: 0
; COMPUTE_PGM_RSRC2:TGID_Z_EN: 0
; COMPUTE_PGM_RSRC2:TIDIG_COMP_CNT: 0
; COMPUTE_PGM_RSRC3_GFX90A:ACCUM_OFFSET: 4
; COMPUTE_PGM_RSRC3_GFX90A:TG_SPLIT: 0
	.text
	.protected	batched_transpose_32x32_dword ; -- Begin function batched_transpose_32x32_dword
	.globl	batched_transpose_32x32_dword
	.p2align	8
	.type	batched_transpose_32x32_dword,@function
batched_transpose_32x32_dword:          ; @batched_transpose_32x32_dword
; %bb.0:
	s_load_dwordx8 s[8:15], s[4:5], 0x10
	s_waitcnt lgkmcnt(0)
	s_cmp_ge_u32 s6, s11
	s_cbranch_scc1 .LBB9_19
; %bb.1:
	s_load_dwordx4 s[16:19], s[4:5], 0x0
	s_add_i32 s0, s8, 31
	s_lshr_b32 s7, s0, 5
	s_mov_b32 s1, 0
	s_lshl_b32 s0, s9, 4
	s_add_i32 s4, s9, 31
	s_lshl_b64 s[2:3], s[0:1], 2
	s_waitcnt lgkmcnt(0)
	s_add_u32 s21, s18, s2
	s_addc_u32 s22, s19, s3
	s_lshl_b32 s0, s8, 4
	s_lshl_b64 s[0:1], s[0:1], 2
	s_add_u32 s23, s16, s0
	s_addc_u32 s24, s17, s1
	s_add_u32 s25, s18, 64
	s_addc_u32 s26, s19, 0
	s_add_u32 s27, s21, 64
	s_addc_u32 s28, s22, 0
	s_add_u32 s29, s16, 64
	v_lshrrev_b32_e32 v13, 4, v0
	s_addc_u32 s30, s17, 0
	v_and_b32_e32 v12, 15, v0
	v_mul_u32_u24_e32 v0, 17, v13
	s_add_u32 s31, s23, 64
	v_add_lshl_u32 v14, v0, v12, 4
	v_mul_u32_u24_e32 v0, 17, v12
	s_addc_u32 s33, s24, 0
	s_andn2_b32 s4, s4, 31
	s_mov_b32 s20, s9
	v_add_lshl_u32 v15, v0, v13, 4
	s_sub_i32 s34, 0, s4
	s_lshl_b32 s35, s6, 5
	s_lshl_b32 s36, s10, 5
	v_mov_b32_e32 v16, s8
	v_mov_b32_e32 v17, s9
	;; [unrolled: 1-line block ×3, first 2 shown]
                                        ; implicit-def: $vgpr3
	s_branch .LBB9_3
.LBB9_2:                                ;   in Loop: Header=BB9_3 Depth=1
	s_or_b64 exec, exec, s[0:1]
	s_add_i32 s6, s6, s10
	s_add_i32 s35, s35, s36
	s_cmp_lt_u32 s6, s11
	s_cbranch_scc0 .LBB9_19
.LBB9_3:                                ; =>This Inner Loop Header: Depth=1
	s_mul_hi_u32 s0, s14, s6
	s_add_i32 s0, s6, s0
	s_lshr_b32 s0, s0, s15
	s_mul_hi_u32 s1, s0, s12
	s_add_i32 s1, s0, s1
	s_lshr_b32 s37, s1, s13
	s_mul_i32 s1, s37, s7
	s_sub_i32 s1, s0, s1
	s_mul_i32 s38, s34, s0
	s_lshl_b32 s39, s1, 5
	s_add_i32 s38, s38, s35
	v_or_b32_e32 v4, s39, v13
	s_waitcnt lgkmcnt(1)
	v_add_u32_e32 v8, s38, v12
	v_mad_u64_u32 v[6:7], s[0:1], s37, v16, v[4:5]
	v_mov_b32_e32 v9, v5
	s_waitcnt lgkmcnt(0)
	v_mad_u64_u32 v[10:11], s[0:1], v6, s20, v[8:9]
	v_mov_b32_e32 v6, v11
	v_mad_u64_u32 v[6:7], s[0:1], v7, s20, v[6:7]
	v_mov_b32_e32 v11, v6
	v_cmp_gt_u32_e64 s[2:3], s8, v4
	v_cmp_gt_u32_e32 vcc, s9, v8
	s_and_b64 s[0:1], s[2:3], vcc
	v_lshlrev_b64 v[6:7], 2, v[10:11]
	s_barrier
	s_and_saveexec_b64 s[4:5], s[0:1]
	s_cbranch_execz .LBB9_5
; %bb.4:                                ;   in Loop: Header=BB9_3 Depth=1
	v_mov_b32_e32 v0, s19
	v_add_co_u32_e64 v10, s[0:1], s18, v6
	v_addc_co_u32_e64 v11, s[0:1], v0, v7, s[0:1]
	global_load_dword v0, v[10:11], off
.LBB9_5:                                ;   in Loop: Header=BB9_3 Depth=1
	s_or_b64 exec, exec, s[4:5]
	v_add_u32_e32 v8, 16, v8
	v_cmp_gt_u32_e64 s[0:1], s9, v8
	s_and_b64 s[2:3], s[2:3], s[0:1]
	s_and_saveexec_b64 s[4:5], s[2:3]
	s_cbranch_execz .LBB9_7
; %bb.6:                                ;   in Loop: Header=BB9_3 Depth=1
	v_mov_b32_e32 v2, s26
	v_add_co_u32_e64 v8, s[2:3], s25, v6
	v_addc_co_u32_e64 v9, s[2:3], v2, v7, s[2:3]
	global_load_dword v2, v[8:9], off
.LBB9_7:                                ;   in Loop: Header=BB9_3 Depth=1
	s_or_b64 exec, exec, s[4:5]
	v_add_u32_e32 v4, 16, v4
	v_cmp_gt_u32_e64 s[2:3], s8, v4
	s_and_b64 s[40:41], s[2:3], vcc
	s_and_saveexec_b64 s[4:5], s[40:41]
	s_cbranch_execz .LBB9_9
; %bb.8:                                ;   in Loop: Header=BB9_3 Depth=1
	v_mov_b32_e32 v1, s22
	v_add_co_u32_e32 v8, vcc, s21, v6
	v_addc_co_u32_e32 v9, vcc, v1, v7, vcc
	global_load_dword v1, v[8:9], off
.LBB9_9:                                ;   in Loop: Header=BB9_3 Depth=1
	s_or_b64 exec, exec, s[4:5]
	s_and_b64 s[2:3], s[2:3], s[0:1]
	s_and_saveexec_b64 s[0:1], s[2:3]
	s_cbranch_execz .LBB9_11
; %bb.10:                               ;   in Loop: Header=BB9_3 Depth=1
	v_mov_b32_e32 v3, s28
	v_add_co_u32_e32 v6, vcc, s27, v6
	v_addc_co_u32_e32 v7, vcc, v3, v7, vcc
	global_load_dword v3, v[6:7], off
.LBB9_11:                               ;   in Loop: Header=BB9_3 Depth=1
	s_or_b64 exec, exec, s[0:1]
	v_add_u32_e32 v4, s38, v13
	v_or_b32_e32 v10, s39, v12
	v_mad_u64_u32 v[6:7], s[0:1], s37, v17, v[4:5]
	v_mov_b32_e32 v11, v5
	s_waitcnt vmcnt(0)
	ds_write_b128 v14, v[0:3]
	s_waitcnt lgkmcnt(0)
	s_barrier
	v_mad_u64_u32 v[18:19], s[0:1], v6, s8, v[10:11]
	ds_read2_b32 v[8:9], v15 offset0:1 offset1:2
	ds_read_b32 v11, v15 offset:12
	v_mov_b32_e32 v6, v19
	v_mad_u64_u32 v[6:7], s[0:1], v7, s8, v[6:7]
	v_mov_b32_e32 v19, v6
	v_cmp_gt_u32_e32 vcc, s8, v10
	v_cmp_gt_u32_e64 s[2:3], s9, v4
	s_and_b64 s[0:1], s[2:3], vcc
	v_lshlrev_b64 v[6:7], 2, v[18:19]
	s_and_saveexec_b64 s[4:5], s[0:1]
	s_cbranch_execz .LBB9_13
; %bb.12:                               ;   in Loop: Header=BB9_3 Depth=1
	ds_read_b32 v20, v15
	v_mov_b32_e32 v19, s17
	v_add_co_u32_e64 v18, s[0:1], s16, v6
	v_addc_co_u32_e64 v19, s[0:1], v19, v7, s[0:1]
	s_waitcnt lgkmcnt(0)
	global_store_dword v[18:19], v20, off
.LBB9_13:                               ;   in Loop: Header=BB9_3 Depth=1
	s_or_b64 exec, exec, s[4:5]
	v_or_b32_e32 v10, 16, v10
	v_cmp_gt_u32_e64 s[0:1], s8, v10
	s_and_b64 s[2:3], s[2:3], s[0:1]
	s_and_saveexec_b64 s[4:5], s[2:3]
	s_cbranch_execz .LBB9_15
; %bb.14:                               ;   in Loop: Header=BB9_3 Depth=1
	v_mov_b32_e32 v10, s30
	v_add_co_u32_e64 v18, s[2:3], s29, v6
	v_addc_co_u32_e64 v19, s[2:3], v10, v7, s[2:3]
	s_waitcnt lgkmcnt(1)
	global_store_dword v[18:19], v8, off
.LBB9_15:                               ;   in Loop: Header=BB9_3 Depth=1
	s_or_b64 exec, exec, s[4:5]
	v_add_u32_e32 v4, 16, v4
	v_cmp_gt_u32_e64 s[2:3], s9, v4
	s_and_b64 s[38:39], s[2:3], vcc
	s_and_saveexec_b64 s[4:5], s[38:39]
	s_cbranch_execz .LBB9_17
; %bb.16:                               ;   in Loop: Header=BB9_3 Depth=1
	v_mov_b32_e32 v4, s24
	v_add_co_u32_e32 v18, vcc, s23, v6
	v_addc_co_u32_e32 v19, vcc, v4, v7, vcc
	s_waitcnt lgkmcnt(1)
	global_store_dword v[18:19], v9, off
.LBB9_17:                               ;   in Loop: Header=BB9_3 Depth=1
	s_or_b64 exec, exec, s[4:5]
	s_and_b64 s[2:3], s[2:3], s[0:1]
	s_and_saveexec_b64 s[0:1], s[2:3]
	s_cbranch_execz .LBB9_2
; %bb.18:                               ;   in Loop: Header=BB9_3 Depth=1
	v_mov_b32_e32 v4, s33
	v_add_co_u32_e32 v6, vcc, s31, v6
	v_addc_co_u32_e32 v7, vcc, v4, v7, vcc
	s_waitcnt lgkmcnt(0)
	global_store_dword v[6:7], v11, off
	s_branch .LBB9_2
.LBB9_19:
	s_endpgm
	.section	.rodata,"a",@progbits
	.p2align	6, 0x0
	.amdhsa_kernel batched_transpose_32x32_dword
		.amdhsa_group_segment_fixed_size 4352
		.amdhsa_private_segment_fixed_size 0
		.amdhsa_kernarg_size 48
		.amdhsa_user_sgpr_count 6
		.amdhsa_user_sgpr_private_segment_buffer 1
		.amdhsa_user_sgpr_dispatch_ptr 0
		.amdhsa_user_sgpr_queue_ptr 0
		.amdhsa_user_sgpr_kernarg_segment_ptr 1
		.amdhsa_user_sgpr_dispatch_id 0
		.amdhsa_user_sgpr_flat_scratch_init 0
		.amdhsa_user_sgpr_kernarg_preload_length 0
		.amdhsa_user_sgpr_kernarg_preload_offset 0
		.amdhsa_user_sgpr_private_segment_size 0
		.amdhsa_uses_dynamic_stack 0
		.amdhsa_system_sgpr_private_segment_wavefront_offset 0
		.amdhsa_system_sgpr_workgroup_id_x 1
		.amdhsa_system_sgpr_workgroup_id_y 0
		.amdhsa_system_sgpr_workgroup_id_z 0
		.amdhsa_system_sgpr_workgroup_info 0
		.amdhsa_system_vgpr_workitem_id 0
		.amdhsa_next_free_vgpr 21
		.amdhsa_next_free_sgpr 42
		.amdhsa_accum_offset 24
		.amdhsa_reserve_vcc 1
		.amdhsa_reserve_flat_scratch 0
		.amdhsa_float_round_mode_32 0
		.amdhsa_float_round_mode_16_64 0
		.amdhsa_float_denorm_mode_32 3
		.amdhsa_float_denorm_mode_16_64 3
		.amdhsa_dx10_clamp 1
		.amdhsa_ieee_mode 1
		.amdhsa_fp16_overflow 0
		.amdhsa_tg_split 0
		.amdhsa_exception_fp_ieee_invalid_op 0
		.amdhsa_exception_fp_denorm_src 0
		.amdhsa_exception_fp_ieee_div_zero 0
		.amdhsa_exception_fp_ieee_overflow 0
		.amdhsa_exception_fp_ieee_underflow 0
		.amdhsa_exception_fp_ieee_inexact 0
		.amdhsa_exception_int_div_zero 0
	.end_amdhsa_kernel
	.text
.Lfunc_end9:
	.size	batched_transpose_32x32_dword, .Lfunc_end9-batched_transpose_32x32_dword
                                        ; -- End function
	.section	.AMDGPU.csdata,"",@progbits
; Kernel info:
; codeLenInByte = 816
; NumSgprs: 46
; NumVgprs: 21
; NumAgprs: 0
; TotalNumVgprs: 21
; ScratchSize: 0
; MemoryBound: 0
; FloatMode: 240
; IeeeMode: 1
; LDSByteSize: 4352 bytes/workgroup (compile time only)
; SGPRBlocks: 5
; VGPRBlocks: 2
; NumSGPRsForWavesPerEU: 46
; NumVGPRsForWavesPerEU: 21
; AccumOffset: 24
; Occupancy: 8
; WaveLimiterHint : 0
; COMPUTE_PGM_RSRC2:SCRATCH_EN: 0
; COMPUTE_PGM_RSRC2:USER_SGPR: 6
; COMPUTE_PGM_RSRC2:TRAP_HANDLER: 0
; COMPUTE_PGM_RSRC2:TGID_X_EN: 1
; COMPUTE_PGM_RSRC2:TGID_Y_EN: 0
; COMPUTE_PGM_RSRC2:TGID_Z_EN: 0
; COMPUTE_PGM_RSRC2:TIDIG_COMP_CNT: 0
; COMPUTE_PGM_RSRC3_GFX90A:ACCUM_OFFSET: 5
; COMPUTE_PGM_RSRC3_GFX90A:TG_SPLIT: 0
	.text
	.protected	batched_transpose_32x32_half ; -- Begin function batched_transpose_32x32_half
	.globl	batched_transpose_32x32_half
	.p2align	8
	.type	batched_transpose_32x32_half,@function
batched_transpose_32x32_half:           ; @batched_transpose_32x32_half
; %bb.0:
	s_load_dwordx8 s[8:15], s[4:5], 0x10
	s_waitcnt lgkmcnt(0)
	s_cmp_ge_u32 s6, s11
	s_cbranch_scc1 .LBB10_19
; %bb.1:
	s_load_dwordx4 s[16:19], s[4:5], 0x0
	s_add_i32 s0, s8, 31
	s_lshr_b32 s7, s0, 5
	s_mov_b32 s1, 0
	s_lshl_b32 s0, s9, 4
	s_add_i32 s4, s9, 31
	s_lshl_b64 s[2:3], s[0:1], 1
	s_waitcnt lgkmcnt(0)
	s_add_u32 s21, s18, s2
	s_addc_u32 s22, s19, s3
	s_lshl_b32 s0, s8, 4
	s_lshl_b64 s[0:1], s[0:1], 1
	s_add_u32 s23, s16, s0
	s_addc_u32 s24, s17, s1
	s_add_u32 s25, s18, 32
	s_addc_u32 s26, s19, 0
	;; [unrolled: 2-line block ×3, first 2 shown]
	s_add_u32 s29, s16, 32
	v_lshrrev_b32_e32 v7, 4, v0
	s_addc_u32 s30, s17, 0
	v_and_b32_e32 v6, 15, v0
	v_mul_u32_u24_e32 v0, 17, v7
	s_add_u32 s31, s23, 32
	v_add_lshl_u32 v8, v0, v6, 3
	v_mul_u32_u24_e32 v0, 17, v6
	s_addc_u32 s33, s24, 0
	s_andn2_b32 s4, s4, 31
	s_mov_b32 s20, s9
	v_add_lshl_u32 v9, v0, v7, 3
	s_sub_i32 s34, 0, s4
	s_lshl_b32 s35, s6, 5
	s_lshl_b32 s36, s10, 5
	v_mov_b32_e32 v10, s8
	s_mov_b32 s37, 0x5040100
	v_mov_b32_e32 v11, s9
	v_mov_b32_e32 v1, 0
                                        ; implicit-def: $vgpr12
                                        ; implicit-def: $vgpr13
                                        ; implicit-def: $vgpr14
                                        ; implicit-def: $vgpr15
	s_branch .LBB10_3
.LBB10_2:                               ;   in Loop: Header=BB10_3 Depth=1
	s_or_b64 exec, exec, s[0:1]
	s_add_i32 s6, s6, s10
	s_add_i32 s35, s35, s36
	s_cmp_lt_u32 s6, s11
	s_cbranch_scc0 .LBB10_19
.LBB10_3:                               ; =>This Inner Loop Header: Depth=1
	s_mul_hi_u32 s0, s14, s6
	s_add_i32 s0, s6, s0
	s_lshr_b32 s0, s0, s15
	s_mul_hi_u32 s1, s0, s12
	s_add_i32 s1, s0, s1
	s_lshr_b32 s38, s1, s13
	s_mul_i32 s1, s38, s7
	s_sub_i32 s1, s0, s1
	s_mul_i32 s39, s34, s0
	s_lshl_b32 s40, s1, 5
	s_add_i32 s39, s39, s35
	v_or_b32_e32 v0, s40, v7
	v_add_u32_e32 v4, s39, v6
	v_mad_u64_u32 v[2:3], s[0:1], s38, v10, v[0:1]
	s_waitcnt lgkmcnt(0)
	v_mov_b32_e32 v5, v1
	v_mad_u64_u32 v[16:17], s[0:1], v2, s20, v[4:5]
	v_mov_b32_e32 v2, v17
	v_mad_u64_u32 v[2:3], s[0:1], v3, s20, v[2:3]
	v_mov_b32_e32 v17, v2
	v_cmp_gt_u32_e64 s[2:3], s8, v0
	v_cmp_gt_u32_e32 vcc, s9, v4
	s_and_b64 s[0:1], s[2:3], vcc
	v_lshlrev_b64 v[2:3], 1, v[16:17]
	s_barrier
	s_and_saveexec_b64 s[4:5], s[0:1]
	s_cbranch_execz .LBB10_5
; %bb.4:                                ;   in Loop: Header=BB10_3 Depth=1
	v_mov_b32_e32 v5, s19
	v_add_co_u32_e64 v16, s[0:1], s18, v2
	v_addc_co_u32_e64 v17, s[0:1], v5, v3, s[0:1]
	global_load_ushort v15, v[16:17], off
.LBB10_5:                               ;   in Loop: Header=BB10_3 Depth=1
	s_or_b64 exec, exec, s[4:5]
	v_add_u32_e32 v4, 16, v4
	v_cmp_gt_u32_e64 s[0:1], s9, v4
	s_and_b64 s[2:3], s[2:3], s[0:1]
	s_and_saveexec_b64 s[4:5], s[2:3]
	s_cbranch_execz .LBB10_7
; %bb.6:                                ;   in Loop: Header=BB10_3 Depth=1
	v_mov_b32_e32 v5, s26
	v_add_co_u32_e64 v4, s[2:3], s25, v2
	v_addc_co_u32_e64 v5, s[2:3], v5, v3, s[2:3]
	global_load_ushort v13, v[4:5], off
.LBB10_7:                               ;   in Loop: Header=BB10_3 Depth=1
	s_or_b64 exec, exec, s[4:5]
	v_add_u32_e32 v0, 16, v0
	v_cmp_gt_u32_e64 s[2:3], s8, v0
	s_and_b64 s[42:43], s[2:3], vcc
	s_and_saveexec_b64 s[4:5], s[42:43]
	s_cbranch_execz .LBB10_9
; %bb.8:                                ;   in Loop: Header=BB10_3 Depth=1
	v_mov_b32_e32 v0, s22
	v_add_co_u32_e32 v4, vcc, s21, v2
	v_addc_co_u32_e32 v5, vcc, v0, v3, vcc
	global_load_ushort v14, v[4:5], off
.LBB10_9:                               ;   in Loop: Header=BB10_3 Depth=1
	s_or_b64 exec, exec, s[4:5]
	s_and_b64 s[2:3], s[2:3], s[0:1]
	s_and_saveexec_b64 s[0:1], s[2:3]
	s_cbranch_execz .LBB10_11
; %bb.10:                               ;   in Loop: Header=BB10_3 Depth=1
	v_mov_b32_e32 v0, s28
	v_add_co_u32_e32 v2, vcc, s27, v2
	v_addc_co_u32_e32 v3, vcc, v0, v3, vcc
	global_load_ushort v12, v[2:3], off
.LBB10_11:                              ;   in Loop: Header=BB10_3 Depth=1
	s_or_b64 exec, exec, s[0:1]
	s_waitcnt vmcnt(0)
	v_perm_b32 v3, v12, v13, s37
	v_perm_b32 v2, v14, v15, s37
	v_add_u32_e32 v0, s39, v7
	ds_write_b64 v8, v[2:3]
	v_or_b32_e32 v4, s40, v6
	v_mad_u64_u32 v[2:3], s[0:1], s38, v11, v[0:1]
	v_mov_b32_e32 v5, v1
	s_waitcnt lgkmcnt(0)
	s_barrier
	v_mad_u64_u32 v[18:19], s[0:1], v2, s8, v[4:5]
	ds_read_u16 v16, v9 offset:2
	ds_read_b32 v5, v9 offset:4
	v_mov_b32_e32 v2, v19
	v_mad_u64_u32 v[2:3], s[0:1], v3, s8, v[2:3]
	v_mov_b32_e32 v19, v2
	v_cmp_gt_u32_e32 vcc, s8, v4
	v_cmp_gt_u32_e64 s[2:3], s9, v0
	s_and_b64 s[0:1], s[2:3], vcc
	v_lshlrev_b64 v[2:3], 1, v[18:19]
	s_and_saveexec_b64 s[4:5], s[0:1]
	s_cbranch_execz .LBB10_13
; %bb.12:                               ;   in Loop: Header=BB10_3 Depth=1
	ds_read_u16 v20, v9
	v_mov_b32_e32 v17, s17
	v_add_co_u32_e64 v18, s[0:1], s16, v2
	v_addc_co_u32_e64 v19, s[0:1], v17, v3, s[0:1]
	s_waitcnt lgkmcnt(0)
	global_store_short v[18:19], v20, off
.LBB10_13:                              ;   in Loop: Header=BB10_3 Depth=1
	s_or_b64 exec, exec, s[4:5]
	v_or_b32_e32 v4, 16, v4
	v_cmp_gt_u32_e64 s[0:1], s8, v4
	s_and_b64 s[2:3], s[2:3], s[0:1]
	s_and_saveexec_b64 s[4:5], s[2:3]
	s_cbranch_execz .LBB10_15
; %bb.14:                               ;   in Loop: Header=BB10_3 Depth=1
	v_mov_b32_e32 v4, s30
	v_add_co_u32_e64 v18, s[2:3], s29, v2
	v_addc_co_u32_e64 v19, s[2:3], v4, v3, s[2:3]
	s_waitcnt lgkmcnt(1)
	global_store_short v[18:19], v16, off
.LBB10_15:                              ;   in Loop: Header=BB10_3 Depth=1
	s_or_b64 exec, exec, s[4:5]
	v_add_u32_e32 v0, 16, v0
	v_cmp_gt_u32_e64 s[2:3], s9, v0
	s_and_b64 s[38:39], s[2:3], vcc
	s_and_saveexec_b64 s[4:5], s[38:39]
	s_cbranch_execz .LBB10_17
; %bb.16:                               ;   in Loop: Header=BB10_3 Depth=1
	v_mov_b32_e32 v0, s24
	s_waitcnt lgkmcnt(1)
	v_add_co_u32_e32 v16, vcc, s23, v2
	v_addc_co_u32_e32 v17, vcc, v0, v3, vcc
	s_waitcnt lgkmcnt(0)
	global_store_short v[16:17], v5, off
.LBB10_17:                              ;   in Loop: Header=BB10_3 Depth=1
	s_or_b64 exec, exec, s[4:5]
	s_and_b64 s[2:3], s[2:3], s[0:1]
	s_and_saveexec_b64 s[0:1], s[2:3]
	s_cbranch_execz .LBB10_2
; %bb.18:                               ;   in Loop: Header=BB10_3 Depth=1
	v_mov_b32_e32 v0, s33
	v_add_co_u32_e32 v2, vcc, s31, v2
	v_addc_co_u32_e32 v3, vcc, v0, v3, vcc
	s_waitcnt lgkmcnt(0)
	global_store_short_d16_hi v[2:3], v5, off
	s_branch .LBB10_2
.LBB10_19:
	s_endpgm
	.section	.rodata,"a",@progbits
	.p2align	6, 0x0
	.amdhsa_kernel batched_transpose_32x32_half
		.amdhsa_group_segment_fixed_size 2176
		.amdhsa_private_segment_fixed_size 0
		.amdhsa_kernarg_size 48
		.amdhsa_user_sgpr_count 6
		.amdhsa_user_sgpr_private_segment_buffer 1
		.amdhsa_user_sgpr_dispatch_ptr 0
		.amdhsa_user_sgpr_queue_ptr 0
		.amdhsa_user_sgpr_kernarg_segment_ptr 1
		.amdhsa_user_sgpr_dispatch_id 0
		.amdhsa_user_sgpr_flat_scratch_init 0
		.amdhsa_user_sgpr_kernarg_preload_length 0
		.amdhsa_user_sgpr_kernarg_preload_offset 0
		.amdhsa_user_sgpr_private_segment_size 0
		.amdhsa_uses_dynamic_stack 0
		.amdhsa_system_sgpr_private_segment_wavefront_offset 0
		.amdhsa_system_sgpr_workgroup_id_x 1
		.amdhsa_system_sgpr_workgroup_id_y 0
		.amdhsa_system_sgpr_workgroup_id_z 0
		.amdhsa_system_sgpr_workgroup_info 0
		.amdhsa_system_vgpr_workitem_id 0
		.amdhsa_next_free_vgpr 21
		.amdhsa_next_free_sgpr 44
		.amdhsa_accum_offset 24
		.amdhsa_reserve_vcc 1
		.amdhsa_reserve_flat_scratch 0
		.amdhsa_float_round_mode_32 0
		.amdhsa_float_round_mode_16_64 0
		.amdhsa_float_denorm_mode_32 3
		.amdhsa_float_denorm_mode_16_64 3
		.amdhsa_dx10_clamp 1
		.amdhsa_ieee_mode 1
		.amdhsa_fp16_overflow 0
		.amdhsa_tg_split 0
		.amdhsa_exception_fp_ieee_invalid_op 0
		.amdhsa_exception_fp_denorm_src 0
		.amdhsa_exception_fp_ieee_div_zero 0
		.amdhsa_exception_fp_ieee_overflow 0
		.amdhsa_exception_fp_ieee_underflow 0
		.amdhsa_exception_fp_ieee_inexact 0
		.amdhsa_exception_int_div_zero 0
	.end_amdhsa_kernel
	.text
.Lfunc_end10:
	.size	batched_transpose_32x32_half, .Lfunc_end10-batched_transpose_32x32_half
                                        ; -- End function
	.section	.AMDGPU.csdata,"",@progbits
; Kernel info:
; codeLenInByte = 840
; NumSgprs: 48
; NumVgprs: 21
; NumAgprs: 0
; TotalNumVgprs: 21
; ScratchSize: 0
; MemoryBound: 0
; FloatMode: 240
; IeeeMode: 1
; LDSByteSize: 2176 bytes/workgroup (compile time only)
; SGPRBlocks: 5
; VGPRBlocks: 2
; NumSGPRsForWavesPerEU: 48
; NumVGPRsForWavesPerEU: 21
; AccumOffset: 24
; Occupancy: 8
; WaveLimiterHint : 0
; COMPUTE_PGM_RSRC2:SCRATCH_EN: 0
; COMPUTE_PGM_RSRC2:USER_SGPR: 6
; COMPUTE_PGM_RSRC2:TRAP_HANDLER: 0
; COMPUTE_PGM_RSRC2:TGID_X_EN: 1
; COMPUTE_PGM_RSRC2:TGID_Y_EN: 0
; COMPUTE_PGM_RSRC2:TGID_Z_EN: 0
; COMPUTE_PGM_RSRC2:TIDIG_COMP_CNT: 0
; COMPUTE_PGM_RSRC3_GFX90A:ACCUM_OFFSET: 5
; COMPUTE_PGM_RSRC3_GFX90A:TG_SPLIT: 0
	.text
	.protected	batched_transpose_32x32_byte ; -- Begin function batched_transpose_32x32_byte
	.globl	batched_transpose_32x32_byte
	.p2align	8
	.type	batched_transpose_32x32_byte,@function
batched_transpose_32x32_byte:           ; @batched_transpose_32x32_byte
; %bb.0:
	s_load_dwordx8 s[8:15], s[4:5], 0x10
	s_waitcnt lgkmcnt(0)
	s_cmp_ge_u32 s6, s11
	s_cbranch_scc1 .LBB11_19
; %bb.1:
	s_load_dwordx4 s[16:19], s[4:5], 0x0
	s_add_i32 s0, s8, 31
	s_lshr_b32 s7, s0, 5
	s_add_i32 s0, s9, 31
	s_lshl_b32 s1, s9, 4
	s_waitcnt lgkmcnt(0)
	s_add_u32 s21, s18, s1
	s_addc_u32 s22, s19, 0
	s_lshl_b32 s1, s8, 4
	s_add_u32 s23, s16, s1
	s_addc_u32 s24, s17, 0
	s_add_u32 s25, s18, 16
	s_addc_u32 s26, s19, 0
	;; [unrolled: 2-line block ×3, first 2 shown]
	s_add_u32 s29, s16, 16
	v_lshrrev_b32_e32 v7, 4, v0
	s_addc_u32 s30, s17, 0
	v_and_b32_e32 v6, 15, v0
	v_mul_u32_u24_e32 v0, 17, v7
	s_add_u32 s31, s23, 16
	v_add_lshl_u32 v8, v0, v6, 2
	v_mul_u32_u24_e32 v0, 17, v6
	s_addc_u32 s33, s24, 0
	s_andn2_b32 s0, s0, 31
	s_mov_b32 s20, s9
	v_add_lshl_u32 v9, v0, v7, 2
	s_sub_i32 s34, 0, s0
	s_lshl_b32 s35, s6, 5
	s_lshl_b32 s36, s10, 5
	v_mov_b32_e32 v10, s8
	v_mov_b32_e32 v11, s9
	;; [unrolled: 1-line block ×3, first 2 shown]
                                        ; implicit-def: $vgpr12
                                        ; implicit-def: $vgpr13
                                        ; implicit-def: $vgpr14
                                        ; implicit-def: $vgpr15
	s_branch .LBB11_3
.LBB11_2:                               ;   in Loop: Header=BB11_3 Depth=1
	s_or_b64 exec, exec, s[0:1]
	s_add_i32 s6, s6, s10
	s_add_i32 s35, s35, s36
	s_cmp_lt_u32 s6, s11
	s_cbranch_scc0 .LBB11_19
.LBB11_3:                               ; =>This Inner Loop Header: Depth=1
	s_mul_hi_u32 s0, s14, s6
	s_add_i32 s0, s6, s0
	s_lshr_b32 s0, s0, s15
	s_mul_hi_u32 s1, s0, s12
	s_add_i32 s1, s0, s1
	s_lshr_b32 s37, s1, s13
	s_mul_i32 s1, s37, s7
	s_sub_i32 s1, s0, s1
	s_mul_i32 s38, s34, s0
	s_lshl_b32 s39, s1, 5
	s_add_i32 s38, s38, s35
	v_or_b32_e32 v0, s39, v7
	v_add_u32_e32 v4, s38, v6
	s_waitcnt lgkmcnt(1)
	v_mad_u64_u32 v[16:17], s[0:1], s37, v10, v[0:1]
	s_waitcnt lgkmcnt(0)
	v_mov_b32_e32 v5, v1
	v_mad_u64_u32 v[2:3], s[0:1], v16, s20, v[4:5]
	v_mov_b32_e32 v16, v3
	v_mad_u64_u32 v[16:17], s[0:1], v17, s20, v[16:17]
	v_cmp_gt_u32_e64 s[2:3], s8, v0
	v_cmp_gt_u32_e32 vcc, s9, v4
	v_mov_b32_e32 v3, v16
	s_and_b64 s[0:1], s[2:3], vcc
	s_barrier
	s_and_saveexec_b64 s[4:5], s[0:1]
	s_cbranch_execz .LBB11_5
; %bb.4:                                ;   in Loop: Header=BB11_3 Depth=1
	v_mov_b32_e32 v5, s19
	v_add_co_u32_e64 v16, s[0:1], s18, v2
	v_addc_co_u32_e64 v17, s[0:1], v5, v3, s[0:1]
	global_load_ubyte v15, v[16:17], off
.LBB11_5:                               ;   in Loop: Header=BB11_3 Depth=1
	s_or_b64 exec, exec, s[4:5]
	v_add_u32_e32 v4, 16, v4
	v_cmp_gt_u32_e64 s[0:1], s9, v4
	s_and_b64 s[2:3], s[2:3], s[0:1]
	s_and_saveexec_b64 s[4:5], s[2:3]
	s_cbranch_execz .LBB11_7
; %bb.6:                                ;   in Loop: Header=BB11_3 Depth=1
	v_mov_b32_e32 v5, s26
	v_add_co_u32_e64 v4, s[2:3], s25, v2
	v_addc_co_u32_e64 v5, s[2:3], v5, v3, s[2:3]
	global_load_ubyte v13, v[4:5], off
.LBB11_7:                               ;   in Loop: Header=BB11_3 Depth=1
	s_or_b64 exec, exec, s[4:5]
	v_add_u32_e32 v0, 16, v0
	v_cmp_gt_u32_e64 s[2:3], s8, v0
	s_and_b64 s[40:41], s[2:3], vcc
	s_and_saveexec_b64 s[4:5], s[40:41]
	s_cbranch_execz .LBB11_9
; %bb.8:                                ;   in Loop: Header=BB11_3 Depth=1
	v_mov_b32_e32 v0, s22
	v_add_co_u32_e32 v4, vcc, s21, v2
	v_addc_co_u32_e32 v5, vcc, v0, v3, vcc
	global_load_ubyte v14, v[4:5], off
.LBB11_9:                               ;   in Loop: Header=BB11_3 Depth=1
	s_or_b64 exec, exec, s[4:5]
	s_and_b64 s[2:3], s[2:3], s[0:1]
	s_and_saveexec_b64 s[0:1], s[2:3]
	s_cbranch_execz .LBB11_11
; %bb.10:                               ;   in Loop: Header=BB11_3 Depth=1
	v_mov_b32_e32 v0, s28
	v_add_co_u32_e32 v2, vcc, s27, v2
	v_addc_co_u32_e32 v3, vcc, v0, v3, vcc
	global_load_ubyte v12, v[2:3], off
.LBB11_11:                              ;   in Loop: Header=BB11_3 Depth=1
	s_or_b64 exec, exec, s[0:1]
	s_waitcnt vmcnt(0)
	v_lshlrev_b16_e32 v0, 8, v14
	v_lshlrev_b16_e32 v2, 8, v12
	v_or_b32_sdwa v0, v15, v0 dst_sel:DWORD dst_unused:UNUSED_PAD src0_sel:BYTE_0 src1_sel:DWORD
	v_or_b32_sdwa v2, v13, v2 dst_sel:WORD_1 dst_unused:UNUSED_PAD src0_sel:BYTE_0 src1_sel:DWORD
	v_or_b32_sdwa v0, v0, v2 dst_sel:DWORD dst_unused:UNUSED_PAD src0_sel:WORD_0 src1_sel:DWORD
	ds_write_b32 v8, v0
	v_add_u32_e32 v0, s38, v7
	v_or_b32_e32 v4, s39, v6
	v_mad_u64_u32 v[16:17], s[0:1], s37, v11, v[0:1]
	v_mov_b32_e32 v5, v1
	v_mad_u64_u32 v[2:3], s[0:1], v16, s8, v[4:5]
	v_mov_b32_e32 v16, v3
	s_waitcnt lgkmcnt(0)
	s_barrier
	v_mad_u64_u32 v[18:19], s[0:1], v17, s8, v[16:17]
	ds_read_u8 v16, v9 offset:1
	ds_read_u16 v5, v9 offset:2
	v_cmp_gt_u32_e32 vcc, s8, v4
	v_cmp_gt_u32_e64 s[2:3], s9, v0
	v_mov_b32_e32 v3, v18
	s_and_b64 s[0:1], s[2:3], vcc
	s_and_saveexec_b64 s[4:5], s[0:1]
	s_cbranch_execz .LBB11_13
; %bb.12:                               ;   in Loop: Header=BB11_3 Depth=1
	ds_read_u8 v20, v9
	v_mov_b32_e32 v17, s17
	v_add_co_u32_e64 v18, s[0:1], s16, v2
	v_addc_co_u32_e64 v19, s[0:1], v17, v3, s[0:1]
	s_waitcnt lgkmcnt(0)
	global_store_byte v[18:19], v20, off
.LBB11_13:                              ;   in Loop: Header=BB11_3 Depth=1
	s_or_b64 exec, exec, s[4:5]
	v_or_b32_e32 v4, 16, v4
	v_cmp_gt_u32_e64 s[0:1], s8, v4
	s_and_b64 s[2:3], s[2:3], s[0:1]
	s_and_saveexec_b64 s[4:5], s[2:3]
	s_cbranch_execz .LBB11_15
; %bb.14:                               ;   in Loop: Header=BB11_3 Depth=1
	v_mov_b32_e32 v4, s30
	v_add_co_u32_e64 v18, s[2:3], s29, v2
	v_addc_co_u32_e64 v19, s[2:3], v4, v3, s[2:3]
	s_waitcnt lgkmcnt(1)
	global_store_byte v[18:19], v16, off
.LBB11_15:                              ;   in Loop: Header=BB11_3 Depth=1
	s_or_b64 exec, exec, s[4:5]
	v_add_u32_e32 v0, 16, v0
	v_cmp_gt_u32_e64 s[2:3], s9, v0
	s_and_b64 s[38:39], s[2:3], vcc
	s_and_saveexec_b64 s[4:5], s[38:39]
	s_cbranch_execz .LBB11_17
; %bb.16:                               ;   in Loop: Header=BB11_3 Depth=1
	v_mov_b32_e32 v0, s24
	s_waitcnt lgkmcnt(1)
	v_add_co_u32_e32 v16, vcc, s23, v2
	v_addc_co_u32_e32 v17, vcc, v0, v3, vcc
	s_waitcnt lgkmcnt(0)
	global_store_byte v[16:17], v5, off
.LBB11_17:                              ;   in Loop: Header=BB11_3 Depth=1
	s_or_b64 exec, exec, s[4:5]
	s_and_b64 s[2:3], s[2:3], s[0:1]
	s_and_saveexec_b64 s[0:1], s[2:3]
	s_cbranch_execz .LBB11_2
; %bb.18:                               ;   in Loop: Header=BB11_3 Depth=1
	v_mov_b32_e32 v4, s33
	v_add_co_u32_e32 v2, vcc, s31, v2
	s_waitcnt lgkmcnt(0)
	v_lshrrev_b16_e32 v0, 8, v5
	v_addc_co_u32_e32 v3, vcc, v4, v3, vcc
	global_store_byte v[2:3], v0, off
	s_branch .LBB11_2
.LBB11_19:
	s_endpgm
	.section	.rodata,"a",@progbits
	.p2align	6, 0x0
	.amdhsa_kernel batched_transpose_32x32_byte
		.amdhsa_group_segment_fixed_size 1088
		.amdhsa_private_segment_fixed_size 0
		.amdhsa_kernarg_size 48
		.amdhsa_user_sgpr_count 6
		.amdhsa_user_sgpr_private_segment_buffer 1
		.amdhsa_user_sgpr_dispatch_ptr 0
		.amdhsa_user_sgpr_queue_ptr 0
		.amdhsa_user_sgpr_kernarg_segment_ptr 1
		.amdhsa_user_sgpr_dispatch_id 0
		.amdhsa_user_sgpr_flat_scratch_init 0
		.amdhsa_user_sgpr_kernarg_preload_length 0
		.amdhsa_user_sgpr_kernarg_preload_offset 0
		.amdhsa_user_sgpr_private_segment_size 0
		.amdhsa_uses_dynamic_stack 0
		.amdhsa_system_sgpr_private_segment_wavefront_offset 0
		.amdhsa_system_sgpr_workgroup_id_x 1
		.amdhsa_system_sgpr_workgroup_id_y 0
		.amdhsa_system_sgpr_workgroup_id_z 0
		.amdhsa_system_sgpr_workgroup_info 0
		.amdhsa_system_vgpr_workitem_id 0
		.amdhsa_next_free_vgpr 21
		.amdhsa_next_free_sgpr 42
		.amdhsa_accum_offset 24
		.amdhsa_reserve_vcc 1
		.amdhsa_reserve_flat_scratch 0
		.amdhsa_float_round_mode_32 0
		.amdhsa_float_round_mode_16_64 0
		.amdhsa_float_denorm_mode_32 3
		.amdhsa_float_denorm_mode_16_64 3
		.amdhsa_dx10_clamp 1
		.amdhsa_ieee_mode 1
		.amdhsa_fp16_overflow 0
		.amdhsa_tg_split 0
		.amdhsa_exception_fp_ieee_invalid_op 0
		.amdhsa_exception_fp_denorm_src 0
		.amdhsa_exception_fp_ieee_div_zero 0
		.amdhsa_exception_fp_ieee_overflow 0
		.amdhsa_exception_fp_ieee_underflow 0
		.amdhsa_exception_fp_ieee_inexact 0
		.amdhsa_exception_int_div_zero 0
	.end_amdhsa_kernel
	.text
.Lfunc_end11:
	.size	batched_transpose_32x32_byte, .Lfunc_end11-batched_transpose_32x32_byte
                                        ; -- End function
	.section	.AMDGPU.csdata,"",@progbits
; Kernel info:
; codeLenInByte = 828
; NumSgprs: 46
; NumVgprs: 21
; NumAgprs: 0
; TotalNumVgprs: 21
; ScratchSize: 0
; MemoryBound: 0
; FloatMode: 240
; IeeeMode: 1
; LDSByteSize: 1088 bytes/workgroup (compile time only)
; SGPRBlocks: 5
; VGPRBlocks: 2
; NumSGPRsForWavesPerEU: 46
; NumVGPRsForWavesPerEU: 21
; AccumOffset: 24
; Occupancy: 8
; WaveLimiterHint : 0
; COMPUTE_PGM_RSRC2:SCRATCH_EN: 0
; COMPUTE_PGM_RSRC2:USER_SGPR: 6
; COMPUTE_PGM_RSRC2:TRAP_HANDLER: 0
; COMPUTE_PGM_RSRC2:TGID_X_EN: 1
; COMPUTE_PGM_RSRC2:TGID_Y_EN: 0
; COMPUTE_PGM_RSRC2:TGID_Z_EN: 0
; COMPUTE_PGM_RSRC2:TIDIG_COMP_CNT: 0
; COMPUTE_PGM_RSRC3_GFX90A:ACCUM_OFFSET: 5
; COMPUTE_PGM_RSRC3_GFX90A:TG_SPLIT: 0
	.text
	.protected	batched_transpose_4x256_dword ; -- Begin function batched_transpose_4x256_dword
	.globl	batched_transpose_4x256_dword
	.p2align	8
	.type	batched_transpose_4x256_dword,@function
batched_transpose_4x256_dword:          ; @batched_transpose_4x256_dword
; %bb.0:
	s_load_dwordx8 s[8:15], s[4:5], 0x10
	s_waitcnt lgkmcnt(0)
	s_cmp_ge_u32 s6, s11
	s_cbranch_scc1 .LBB12_19
; %bb.1:
	s_load_dwordx4 s[16:19], s[4:5], 0x0
	s_mov_b32 s3, 0
	s_add_i32 s0, s8, 0xff
	s_mov_b32 s4, s8
	s_mov_b32 s5, s3
	s_lshr_b32 s7, s0, 8
	s_add_i32 s20, s9, 3
	s_lshl_b64 s[0:1], s[4:5], 2
	s_waitcnt lgkmcnt(0)
	s_add_u32 s5, s16, s0
	s_addc_u32 s29, s17, s1
	s_lshl_b32 s2, s8, 1
	s_lshl_b64 s[0:1], s[2:3], 2
	s_add_u32 s30, s16, s0
	s_mul_i32 s2, s8, 3
	s_addc_u32 s31, s17, s1
	s_lshl_b64 s[0:1], s[2:3], 2
	s_add_u32 s33, s16, s0
	s_addc_u32 s34, s17, s1
	s_add_u32 s35, s18, 4
	s_addc_u32 s36, s19, 0
	s_add_u32 s37, s18, 8
	s_addc_u32 s38, s19, 0
	s_add_u32 s39, s18, 12
	s_addc_u32 s40, s19, 0
	s_and_b32 s0, s20, -4
	s_mov_b32 s28, s9
	s_sub_i32 s41, 0, s0
	s_lshl_b32 s42, s6, 2
	s_lshl_b32 s43, s10, 2
	v_mov_b32_e32 v1, s8
	v_mov_b32_e32 v3, 0
                                        ; implicit-def: $vgpr6
                                        ; implicit-def: $vgpr7
                                        ; implicit-def: $vgpr8
                                        ; implicit-def: $vgpr9
	s_branch .LBB12_3
.LBB12_2:                               ;   in Loop: Header=BB12_3 Depth=1
	s_or_b64 exec, exec, s[20:21]
	s_add_i32 s6, s6, s10
	s_add_i32 s42, s42, s43
	s_cmp_lt_u32 s6, s11
	s_cbranch_scc0 .LBB12_19
.LBB12_3:                               ; =>This Inner Loop Header: Depth=1
	s_mul_hi_u32 s0, s14, s6
	s_add_i32 s0, s6, s0
	s_lshr_b32 s0, s0, s15
	s_mul_hi_u32 s1, s0, s12
	s_add_i32 s1, s0, s1
	s_lshr_b32 s44, s1, s13
	s_mul_i32 s1, s44, s7
	s_sub_i32 s1, s0, s1
	s_mul_i32 s0, s41, s0
	s_add_i32 s2, s42, s0
	v_lshl_or_b32 v2, s1, 8, v0
	v_mad_u64_u32 v[4:5], s[0:1], s44, v1, v[2:3]
	v_pk_mov_b32 v[10:11], s[2:3], s[2:3] op_sel:[0,1]
	v_mad_u64_u32 v[10:11], s[0:1], v4, s28, v[10:11]
	v_mov_b32_e32 v4, v11
	v_mad_u64_u32 v[4:5], s[0:1], v5, s28, v[4:5]
	s_cmp_lt_u32 s2, s9
	v_mov_b32_e32 v11, v4
	v_cmp_gt_u32_e32 vcc, s8, v2
	s_cselect_b64 s[0:1], -1, 0
	s_and_b64 s[20:21], s[0:1], vcc
	v_lshlrev_b64 v[4:5], 2, v[10:11]
	s_and_saveexec_b64 s[22:23], s[20:21]
	s_cbranch_execz .LBB12_5
; %bb.4:                                ;   in Loop: Header=BB12_3 Depth=1
	s_waitcnt vmcnt(0)
	v_mov_b32_e32 v9, s19
	v_add_co_u32_e64 v10, s[0:1], s18, v4
	v_addc_co_u32_e64 v11, s[0:1], v9, v5, s[0:1]
	global_load_dword v9, v[10:11], off
.LBB12_5:                               ;   in Loop: Header=BB12_3 Depth=1
	s_or_b64 exec, exec, s[22:23]
	s_add_i32 s0, s2, 1
	s_cmp_lt_u32 s0, s9
	s_cselect_b64 s[0:1], -1, 0
	s_and_b64 s[22:23], vcc, s[0:1]
	s_and_saveexec_b64 s[24:25], s[22:23]
	s_cbranch_execz .LBB12_7
; %bb.6:                                ;   in Loop: Header=BB12_3 Depth=1
	s_waitcnt vmcnt(0)
	v_mov_b32_e32 v8, s36
	v_add_co_u32_e64 v10, s[0:1], s35, v4
	v_addc_co_u32_e64 v11, s[0:1], v8, v5, s[0:1]
	global_load_dword v8, v[10:11], off
.LBB12_7:                               ;   in Loop: Header=BB12_3 Depth=1
	s_or_b64 exec, exec, s[24:25]
	s_add_i32 s0, s2, 2
	s_cmp_lt_u32 s0, s9
	s_cselect_b64 s[0:1], -1, 0
	s_and_b64 s[24:25], vcc, s[0:1]
	;; [unrolled: 14-line block ×3, first 2 shown]
	s_and_saveexec_b64 s[26:27], s[0:1]
	s_cbranch_execz .LBB12_11
; %bb.10:                               ;   in Loop: Header=BB12_3 Depth=1
	s_waitcnt vmcnt(0)
	v_mov_b32_e32 v6, s40
	v_add_co_u32_e32 v4, vcc, s39, v4
	v_addc_co_u32_e32 v5, vcc, v6, v5, vcc
	global_load_dword v6, v[4:5], off
.LBB12_11:                              ;   in Loop: Header=BB12_3 Depth=1
	s_or_b64 exec, exec, s[26:27]
	s_mul_hi_u32 s26, s44, s28
	s_mul_i32 s44, s44, s28
	s_add_u32 s2, s44, s2
	s_addc_u32 s26, s26, 0
	s_mul_i32 s44, s26, s4
	v_mad_u64_u32 v[4:5], s[26:27], s2, v1, v[2:3]
	v_add_u32_e32 v5, s44, v5
	v_lshlrev_b64 v[4:5], 2, v[4:5]
	s_and_saveexec_b64 s[26:27], s[20:21]
	s_cbranch_execnz .LBB12_15
; %bb.12:                               ;   in Loop: Header=BB12_3 Depth=1
	s_or_b64 exec, exec, s[26:27]
	s_and_saveexec_b64 s[20:21], s[22:23]
	s_cbranch_execnz .LBB12_16
.LBB12_13:                              ;   in Loop: Header=BB12_3 Depth=1
	s_or_b64 exec, exec, s[20:21]
	s_and_saveexec_b64 s[20:21], s[24:25]
	s_cbranch_execnz .LBB12_17
.LBB12_14:                              ;   in Loop: Header=BB12_3 Depth=1
	s_or_b64 exec, exec, s[20:21]
	s_and_saveexec_b64 s[20:21], s[0:1]
	s_cbranch_execz .LBB12_2
	s_branch .LBB12_18
.LBB12_15:                              ;   in Loop: Header=BB12_3 Depth=1
	v_mov_b32_e32 v2, s17
	v_add_co_u32_e32 v10, vcc, s16, v4
	v_addc_co_u32_e32 v11, vcc, v2, v5, vcc
	s_waitcnt vmcnt(0)
	global_store_dword v[10:11], v9, off
	s_or_b64 exec, exec, s[26:27]
	s_and_saveexec_b64 s[20:21], s[22:23]
	s_cbranch_execz .LBB12_13
.LBB12_16:                              ;   in Loop: Header=BB12_3 Depth=1
	v_mov_b32_e32 v2, s29
	v_add_co_u32_e32 v10, vcc, s5, v4
	v_addc_co_u32_e32 v11, vcc, v2, v5, vcc
	s_waitcnt vmcnt(0)
	global_store_dword v[10:11], v8, off
	s_or_b64 exec, exec, s[20:21]
	s_and_saveexec_b64 s[20:21], s[24:25]
	s_cbranch_execz .LBB12_14
.LBB12_17:                              ;   in Loop: Header=BB12_3 Depth=1
	v_mov_b32_e32 v2, s31
	v_add_co_u32_e32 v10, vcc, s30, v4
	v_addc_co_u32_e32 v11, vcc, v2, v5, vcc
	s_waitcnt vmcnt(0)
	global_store_dword v[10:11], v7, off
	s_or_b64 exec, exec, s[20:21]
	s_and_saveexec_b64 s[20:21], s[0:1]
	s_cbranch_execz .LBB12_2
.LBB12_18:                              ;   in Loop: Header=BB12_3 Depth=1
	v_mov_b32_e32 v2, s34
	v_add_co_u32_e32 v4, vcc, s33, v4
	v_addc_co_u32_e32 v5, vcc, v2, v5, vcc
	s_waitcnt vmcnt(0)
	global_store_dword v[4:5], v6, off
	s_branch .LBB12_2
.LBB12_19:
	s_endpgm
	.section	.rodata,"a",@progbits
	.p2align	6, 0x0
	.amdhsa_kernel batched_transpose_4x256_dword
		.amdhsa_group_segment_fixed_size 0
		.amdhsa_private_segment_fixed_size 0
		.amdhsa_kernarg_size 48
		.amdhsa_user_sgpr_count 6
		.amdhsa_user_sgpr_private_segment_buffer 1
		.amdhsa_user_sgpr_dispatch_ptr 0
		.amdhsa_user_sgpr_queue_ptr 0
		.amdhsa_user_sgpr_kernarg_segment_ptr 1
		.amdhsa_user_sgpr_dispatch_id 0
		.amdhsa_user_sgpr_flat_scratch_init 0
		.amdhsa_user_sgpr_kernarg_preload_length 0
		.amdhsa_user_sgpr_kernarg_preload_offset 0
		.amdhsa_user_sgpr_private_segment_size 0
		.amdhsa_uses_dynamic_stack 0
		.amdhsa_system_sgpr_private_segment_wavefront_offset 0
		.amdhsa_system_sgpr_workgroup_id_x 1
		.amdhsa_system_sgpr_workgroup_id_y 0
		.amdhsa_system_sgpr_workgroup_id_z 0
		.amdhsa_system_sgpr_workgroup_info 0
		.amdhsa_system_vgpr_workitem_id 0
		.amdhsa_next_free_vgpr 12
		.amdhsa_next_free_sgpr 45
		.amdhsa_accum_offset 12
		.amdhsa_reserve_vcc 1
		.amdhsa_reserve_flat_scratch 0
		.amdhsa_float_round_mode_32 0
		.amdhsa_float_round_mode_16_64 0
		.amdhsa_float_denorm_mode_32 3
		.amdhsa_float_denorm_mode_16_64 3
		.amdhsa_dx10_clamp 1
		.amdhsa_ieee_mode 1
		.amdhsa_fp16_overflow 0
		.amdhsa_tg_split 0
		.amdhsa_exception_fp_ieee_invalid_op 0
		.amdhsa_exception_fp_denorm_src 0
		.amdhsa_exception_fp_ieee_div_zero 0
		.amdhsa_exception_fp_ieee_overflow 0
		.amdhsa_exception_fp_ieee_underflow 0
		.amdhsa_exception_fp_ieee_inexact 0
		.amdhsa_exception_int_div_zero 0
	.end_amdhsa_kernel
	.text
.Lfunc_end12:
	.size	batched_transpose_4x256_dword, .Lfunc_end12-batched_transpose_4x256_dword
                                        ; -- End function
	.section	.AMDGPU.csdata,"",@progbits
; Kernel info:
; codeLenInByte = 736
; NumSgprs: 49
; NumVgprs: 12
; NumAgprs: 0
; TotalNumVgprs: 12
; ScratchSize: 0
; MemoryBound: 0
; FloatMode: 240
; IeeeMode: 1
; LDSByteSize: 0 bytes/workgroup (compile time only)
; SGPRBlocks: 6
; VGPRBlocks: 1
; NumSGPRsForWavesPerEU: 49
; NumVGPRsForWavesPerEU: 12
; AccumOffset: 12
; Occupancy: 8
; WaveLimiterHint : 0
; COMPUTE_PGM_RSRC2:SCRATCH_EN: 0
; COMPUTE_PGM_RSRC2:USER_SGPR: 6
; COMPUTE_PGM_RSRC2:TRAP_HANDLER: 0
; COMPUTE_PGM_RSRC2:TGID_X_EN: 1
; COMPUTE_PGM_RSRC2:TGID_Y_EN: 0
; COMPUTE_PGM_RSRC2:TGID_Z_EN: 0
; COMPUTE_PGM_RSRC2:TIDIG_COMP_CNT: 0
; COMPUTE_PGM_RSRC3_GFX90A:ACCUM_OFFSET: 2
; COMPUTE_PGM_RSRC3_GFX90A:TG_SPLIT: 0
	.text
	.protected	batched_transpose_4x256_half ; -- Begin function batched_transpose_4x256_half
	.globl	batched_transpose_4x256_half
	.p2align	8
	.type	batched_transpose_4x256_half,@function
batched_transpose_4x256_half:           ; @batched_transpose_4x256_half
; %bb.0:
	s_load_dwordx8 s[8:15], s[4:5], 0x10
	s_waitcnt lgkmcnt(0)
	s_cmp_ge_u32 s6, s11
	s_cbranch_scc1 .LBB13_19
; %bb.1:
	s_load_dwordx4 s[16:19], s[4:5], 0x0
	s_mov_b32 s3, 0
	s_add_i32 s0, s8, 0xff
	s_mov_b32 s4, s8
	s_mov_b32 s5, s3
	s_lshr_b32 s7, s0, 8
	s_add_i32 s20, s9, 3
	s_lshl_b64 s[0:1], s[4:5], 1
	s_waitcnt lgkmcnt(0)
	s_add_u32 s5, s16, s0
	s_addc_u32 s29, s17, s1
	s_lshl_b32 s2, s8, 1
	s_lshl_b64 s[0:1], s[2:3], 1
	s_add_u32 s30, s16, s0
	s_mul_i32 s2, s8, 3
	s_addc_u32 s31, s17, s1
	s_lshl_b64 s[0:1], s[2:3], 1
	s_add_u32 s33, s16, s0
	s_addc_u32 s34, s17, s1
	s_add_u32 s35, s18, 2
	s_addc_u32 s36, s19, 0
	;; [unrolled: 2-line block ×4, first 2 shown]
	s_and_b32 s0, s20, -4
	s_mov_b32 s28, s9
	s_sub_i32 s41, 0, s0
	s_lshl_b32 s42, s6, 2
	s_lshl_b32 s43, s10, 2
	v_mov_b32_e32 v1, s8
	v_mov_b32_e32 v3, 0
                                        ; implicit-def: $vgpr6
                                        ; implicit-def: $vgpr7
                                        ; implicit-def: $vgpr8
                                        ; implicit-def: $vgpr9
	s_branch .LBB13_3
.LBB13_2:                               ;   in Loop: Header=BB13_3 Depth=1
	s_or_b64 exec, exec, s[20:21]
	s_add_i32 s6, s6, s10
	s_add_i32 s42, s42, s43
	s_cmp_lt_u32 s6, s11
	s_cbranch_scc0 .LBB13_19
.LBB13_3:                               ; =>This Inner Loop Header: Depth=1
	s_mul_hi_u32 s0, s14, s6
	s_add_i32 s0, s6, s0
	s_lshr_b32 s0, s0, s15
	s_mul_hi_u32 s1, s0, s12
	s_add_i32 s1, s0, s1
	s_lshr_b32 s44, s1, s13
	s_mul_i32 s1, s44, s7
	s_sub_i32 s1, s0, s1
	s_mul_i32 s0, s41, s0
	s_add_i32 s2, s42, s0
	v_lshl_or_b32 v2, s1, 8, v0
	v_mad_u64_u32 v[4:5], s[0:1], s44, v1, v[2:3]
	v_pk_mov_b32 v[10:11], s[2:3], s[2:3] op_sel:[0,1]
	v_mad_u64_u32 v[10:11], s[0:1], v4, s28, v[10:11]
	v_mov_b32_e32 v4, v11
	v_mad_u64_u32 v[4:5], s[0:1], v5, s28, v[4:5]
	s_cmp_lt_u32 s2, s9
	v_mov_b32_e32 v11, v4
	v_cmp_gt_u32_e32 vcc, s8, v2
	s_cselect_b64 s[0:1], -1, 0
	s_and_b64 s[20:21], s[0:1], vcc
	v_lshlrev_b64 v[4:5], 1, v[10:11]
	s_and_saveexec_b64 s[22:23], s[20:21]
	s_cbranch_execz .LBB13_5
; %bb.4:                                ;   in Loop: Header=BB13_3 Depth=1
	s_waitcnt vmcnt(0)
	v_mov_b32_e32 v9, s19
	v_add_co_u32_e64 v10, s[0:1], s18, v4
	v_addc_co_u32_e64 v11, s[0:1], v9, v5, s[0:1]
	global_load_ushort v9, v[10:11], off
.LBB13_5:                               ;   in Loop: Header=BB13_3 Depth=1
	s_or_b64 exec, exec, s[22:23]
	s_add_i32 s0, s2, 1
	s_cmp_lt_u32 s0, s9
	s_cselect_b64 s[0:1], -1, 0
	s_and_b64 s[22:23], vcc, s[0:1]
	s_and_saveexec_b64 s[24:25], s[22:23]
	s_cbranch_execz .LBB13_7
; %bb.6:                                ;   in Loop: Header=BB13_3 Depth=1
	s_waitcnt vmcnt(0)
	v_mov_b32_e32 v8, s36
	v_add_co_u32_e64 v10, s[0:1], s35, v4
	v_addc_co_u32_e64 v11, s[0:1], v8, v5, s[0:1]
	global_load_ushort v8, v[10:11], off
.LBB13_7:                               ;   in Loop: Header=BB13_3 Depth=1
	s_or_b64 exec, exec, s[24:25]
	s_add_i32 s0, s2, 2
	s_cmp_lt_u32 s0, s9
	s_cselect_b64 s[0:1], -1, 0
	s_and_b64 s[24:25], vcc, s[0:1]
	;; [unrolled: 14-line block ×3, first 2 shown]
	s_and_saveexec_b64 s[26:27], s[0:1]
	s_cbranch_execz .LBB13_11
; %bb.10:                               ;   in Loop: Header=BB13_3 Depth=1
	s_waitcnt vmcnt(0)
	v_mov_b32_e32 v6, s40
	v_add_co_u32_e32 v4, vcc, s39, v4
	v_addc_co_u32_e32 v5, vcc, v6, v5, vcc
	global_load_ushort v6, v[4:5], off
.LBB13_11:                              ;   in Loop: Header=BB13_3 Depth=1
	s_or_b64 exec, exec, s[26:27]
	s_mul_hi_u32 s26, s44, s28
	s_mul_i32 s44, s44, s28
	s_add_u32 s2, s44, s2
	s_addc_u32 s26, s26, 0
	s_mul_i32 s44, s26, s4
	v_mad_u64_u32 v[4:5], s[26:27], s2, v1, v[2:3]
	v_add_u32_e32 v5, s44, v5
	v_lshlrev_b64 v[4:5], 1, v[4:5]
	s_and_saveexec_b64 s[26:27], s[20:21]
	s_cbranch_execnz .LBB13_15
; %bb.12:                               ;   in Loop: Header=BB13_3 Depth=1
	s_or_b64 exec, exec, s[26:27]
	s_and_saveexec_b64 s[20:21], s[22:23]
	s_cbranch_execnz .LBB13_16
.LBB13_13:                              ;   in Loop: Header=BB13_3 Depth=1
	s_or_b64 exec, exec, s[20:21]
	s_and_saveexec_b64 s[20:21], s[24:25]
	s_cbranch_execnz .LBB13_17
.LBB13_14:                              ;   in Loop: Header=BB13_3 Depth=1
	s_or_b64 exec, exec, s[20:21]
	s_and_saveexec_b64 s[20:21], s[0:1]
	s_cbranch_execz .LBB13_2
	s_branch .LBB13_18
.LBB13_15:                              ;   in Loop: Header=BB13_3 Depth=1
	v_mov_b32_e32 v2, s17
	v_add_co_u32_e32 v10, vcc, s16, v4
	v_addc_co_u32_e32 v11, vcc, v2, v5, vcc
	s_waitcnt vmcnt(0)
	global_store_short v[10:11], v9, off
	s_or_b64 exec, exec, s[26:27]
	s_and_saveexec_b64 s[20:21], s[22:23]
	s_cbranch_execz .LBB13_13
.LBB13_16:                              ;   in Loop: Header=BB13_3 Depth=1
	v_mov_b32_e32 v2, s29
	v_add_co_u32_e32 v10, vcc, s5, v4
	v_addc_co_u32_e32 v11, vcc, v2, v5, vcc
	s_waitcnt vmcnt(0)
	global_store_short v[10:11], v8, off
	s_or_b64 exec, exec, s[20:21]
	s_and_saveexec_b64 s[20:21], s[24:25]
	s_cbranch_execz .LBB13_14
.LBB13_17:                              ;   in Loop: Header=BB13_3 Depth=1
	v_mov_b32_e32 v2, s31
	v_add_co_u32_e32 v10, vcc, s30, v4
	v_addc_co_u32_e32 v11, vcc, v2, v5, vcc
	s_waitcnt vmcnt(0)
	global_store_short v[10:11], v7, off
	s_or_b64 exec, exec, s[20:21]
	s_and_saveexec_b64 s[20:21], s[0:1]
	s_cbranch_execz .LBB13_2
.LBB13_18:                              ;   in Loop: Header=BB13_3 Depth=1
	v_mov_b32_e32 v2, s34
	v_add_co_u32_e32 v4, vcc, s33, v4
	v_addc_co_u32_e32 v5, vcc, v2, v5, vcc
	s_waitcnt vmcnt(0)
	global_store_short v[4:5], v6, off
	s_branch .LBB13_2
.LBB13_19:
	s_endpgm
	.section	.rodata,"a",@progbits
	.p2align	6, 0x0
	.amdhsa_kernel batched_transpose_4x256_half
		.amdhsa_group_segment_fixed_size 0
		.amdhsa_private_segment_fixed_size 0
		.amdhsa_kernarg_size 48
		.amdhsa_user_sgpr_count 6
		.amdhsa_user_sgpr_private_segment_buffer 1
		.amdhsa_user_sgpr_dispatch_ptr 0
		.amdhsa_user_sgpr_queue_ptr 0
		.amdhsa_user_sgpr_kernarg_segment_ptr 1
		.amdhsa_user_sgpr_dispatch_id 0
		.amdhsa_user_sgpr_flat_scratch_init 0
		.amdhsa_user_sgpr_kernarg_preload_length 0
		.amdhsa_user_sgpr_kernarg_preload_offset 0
		.amdhsa_user_sgpr_private_segment_size 0
		.amdhsa_uses_dynamic_stack 0
		.amdhsa_system_sgpr_private_segment_wavefront_offset 0
		.amdhsa_system_sgpr_workgroup_id_x 1
		.amdhsa_system_sgpr_workgroup_id_y 0
		.amdhsa_system_sgpr_workgroup_id_z 0
		.amdhsa_system_sgpr_workgroup_info 0
		.amdhsa_system_vgpr_workitem_id 0
		.amdhsa_next_free_vgpr 12
		.amdhsa_next_free_sgpr 45
		.amdhsa_accum_offset 12
		.amdhsa_reserve_vcc 1
		.amdhsa_reserve_flat_scratch 0
		.amdhsa_float_round_mode_32 0
		.amdhsa_float_round_mode_16_64 0
		.amdhsa_float_denorm_mode_32 3
		.amdhsa_float_denorm_mode_16_64 3
		.amdhsa_dx10_clamp 1
		.amdhsa_ieee_mode 1
		.amdhsa_fp16_overflow 0
		.amdhsa_tg_split 0
		.amdhsa_exception_fp_ieee_invalid_op 0
		.amdhsa_exception_fp_denorm_src 0
		.amdhsa_exception_fp_ieee_div_zero 0
		.amdhsa_exception_fp_ieee_overflow 0
		.amdhsa_exception_fp_ieee_underflow 0
		.amdhsa_exception_fp_ieee_inexact 0
		.amdhsa_exception_int_div_zero 0
	.end_amdhsa_kernel
	.text
.Lfunc_end13:
	.size	batched_transpose_4x256_half, .Lfunc_end13-batched_transpose_4x256_half
                                        ; -- End function
	.section	.AMDGPU.csdata,"",@progbits
; Kernel info:
; codeLenInByte = 736
; NumSgprs: 49
; NumVgprs: 12
; NumAgprs: 0
; TotalNumVgprs: 12
; ScratchSize: 0
; MemoryBound: 0
; FloatMode: 240
; IeeeMode: 1
; LDSByteSize: 0 bytes/workgroup (compile time only)
; SGPRBlocks: 6
; VGPRBlocks: 1
; NumSGPRsForWavesPerEU: 49
; NumVGPRsForWavesPerEU: 12
; AccumOffset: 12
; Occupancy: 8
; WaveLimiterHint : 0
; COMPUTE_PGM_RSRC2:SCRATCH_EN: 0
; COMPUTE_PGM_RSRC2:USER_SGPR: 6
; COMPUTE_PGM_RSRC2:TRAP_HANDLER: 0
; COMPUTE_PGM_RSRC2:TGID_X_EN: 1
; COMPUTE_PGM_RSRC2:TGID_Y_EN: 0
; COMPUTE_PGM_RSRC2:TGID_Z_EN: 0
; COMPUTE_PGM_RSRC2:TIDIG_COMP_CNT: 0
; COMPUTE_PGM_RSRC3_GFX90A:ACCUM_OFFSET: 2
; COMPUTE_PGM_RSRC3_GFX90A:TG_SPLIT: 0
	.text
	.protected	batched_transpose_4x256_byte ; -- Begin function batched_transpose_4x256_byte
	.globl	batched_transpose_4x256_byte
	.p2align	8
	.type	batched_transpose_4x256_byte,@function
batched_transpose_4x256_byte:           ; @batched_transpose_4x256_byte
; %bb.0:
	s_load_dwordx8 s[8:15], s[4:5], 0x10
	s_waitcnt lgkmcnt(0)
	s_cmp_ge_u32 s6, s11
	s_cbranch_scc1 .LBB14_19
; %bb.1:
	s_load_dwordx4 s[16:19], s[4:5], 0x0
	s_add_i32 s0, s8, 0xff
	s_lshr_b32 s7, s0, 8
	s_add_i32 s0, s9, 3
	s_mov_b32 s3, 0
	s_waitcnt lgkmcnt(0)
	s_add_u32 s27, s16, s8
	s_addc_u32 s28, s17, 0
	s_lshl_b32 s1, s8, 1
	s_add_u32 s29, s16, s1
	s_addc_u32 s30, s17, 0
	s_mul_i32 s1, s8, 3
	s_add_u32 s31, s16, s1
	s_addc_u32 s33, s17, 0
	s_add_u32 s34, s18, 1
	s_addc_u32 s35, s19, 0
	;; [unrolled: 2-line block ×4, first 2 shown]
	s_and_b32 s0, s0, -4
	s_mov_b32 s26, s9
	s_sub_i32 s40, 0, s0
	s_lshl_b32 s41, s6, 2
	s_lshl_b32 s42, s10, 2
	v_mov_b32_e32 v6, s8
	v_mov_b32_e32 v3, 0
                                        ; implicit-def: $vgpr7
                                        ; implicit-def: $vgpr8
                                        ; implicit-def: $vgpr9
                                        ; implicit-def: $vgpr10
	s_branch .LBB14_3
.LBB14_2:                               ;   in Loop: Header=BB14_3 Depth=1
	s_or_b64 exec, exec, s[4:5]
	s_add_i32 s6, s6, s10
	s_add_i32 s41, s41, s42
	s_cmp_lt_u32 s6, s11
	s_cbranch_scc0 .LBB14_19
.LBB14_3:                               ; =>This Inner Loop Header: Depth=1
	s_mul_hi_u32 s0, s14, s6
	s_add_i32 s0, s6, s0
	s_lshr_b32 s0, s0, s15
	s_mul_hi_u32 s1, s0, s12
	s_add_i32 s1, s0, s1
	s_lshr_b32 s43, s1, s13
	s_mul_i32 s1, s43, s7
	s_sub_i32 s1, s0, s1
	s_mul_i32 s0, s40, s0
	s_add_i32 s2, s41, s0
	v_lshl_or_b32 v2, s1, 8, v0
	v_mad_u64_u32 v[12:13], s[0:1], s43, v6, v[2:3]
	v_pk_mov_b32 v[4:5], s[2:3], s[2:3] op_sel:[0,1]
	v_mad_u64_u32 v[4:5], s[0:1], v12, s26, v[4:5]
	v_mov_b32_e32 v12, v5
	v_mad_u64_u32 v[12:13], s[0:1], v13, s26, v[12:13]
	s_cmp_lt_u32 s2, s9
	v_cmp_gt_u32_e32 vcc, s8, v2
	s_cselect_b64 s[0:1], -1, 0
	v_mov_b32_e32 v1, v12
	s_and_b64 s[4:5], s[0:1], vcc
	s_and_saveexec_b64 s[20:21], s[4:5]
	s_cbranch_execz .LBB14_5
; %bb.4:                                ;   in Loop: Header=BB14_3 Depth=1
	v_mov_b32_e32 v5, s19
	s_waitcnt vmcnt(0)
	v_add_co_u32_e64 v10, s[0:1], s18, v4
	v_addc_co_u32_e64 v11, s[0:1], v5, v1, s[0:1]
	global_load_ubyte v10, v[10:11], off
.LBB14_5:                               ;   in Loop: Header=BB14_3 Depth=1
	s_or_b64 exec, exec, s[20:21]
	s_add_i32 s0, s2, 1
	s_cmp_lt_u32 s0, s9
	s_cselect_b64 s[0:1], -1, 0
	s_and_b64 s[20:21], vcc, s[0:1]
	s_and_saveexec_b64 s[22:23], s[20:21]
	s_cbranch_execz .LBB14_7
; %bb.6:                                ;   in Loop: Header=BB14_3 Depth=1
	v_mov_b32_e32 v5, s35
	v_add_co_u32_e64 v12, s[0:1], s34, v4
	v_addc_co_u32_e64 v13, s[0:1], v5, v1, s[0:1]
	global_load_ubyte v9, v[12:13], off
.LBB14_7:                               ;   in Loop: Header=BB14_3 Depth=1
	s_or_b64 exec, exec, s[22:23]
	s_add_i32 s0, s2, 2
	s_cmp_lt_u32 s0, s9
	s_cselect_b64 s[0:1], -1, 0
	s_and_b64 s[22:23], vcc, s[0:1]
	s_and_saveexec_b64 s[24:25], s[22:23]
	s_cbranch_execz .LBB14_9
; %bb.8:                                ;   in Loop: Header=BB14_3 Depth=1
	v_mov_b32_e32 v5, s37
	v_add_co_u32_e64 v12, s[0:1], s36, v4
	v_addc_co_u32_e64 v13, s[0:1], v5, v1, s[0:1]
	global_load_ubyte v8, v[12:13], off
.LBB14_9:                               ;   in Loop: Header=BB14_3 Depth=1
	s_or_b64 exec, exec, s[24:25]
	s_add_i32 s0, s2, 3
	s_cmp_lt_u32 s0, s9
	s_cselect_b64 s[0:1], -1, 0
	s_and_b64 s[0:1], vcc, s[0:1]
	s_and_saveexec_b64 s[24:25], s[0:1]
	s_cbranch_execz .LBB14_11
; %bb.10:                               ;   in Loop: Header=BB14_3 Depth=1
	v_mov_b32_e32 v5, s39
	v_add_co_u32_e32 v4, vcc, s38, v4
	v_addc_co_u32_e32 v5, vcc, v5, v1, vcc
	global_load_ubyte v7, v[4:5], off
.LBB14_11:                              ;   in Loop: Header=BB14_3 Depth=1
	s_or_b64 exec, exec, s[24:25]
	s_mul_hi_u32 s24, s43, s26
	s_mul_i32 s43, s43, s26
	s_add_u32 s2, s43, s2
	s_addc_u32 s24, s24, 0
	s_mul_i32 s43, s24, s8
	v_mad_u64_u32 v[4:5], s[24:25], s2, v6, v[2:3]
	v_add_u32_e32 v1, s43, v5
	s_and_saveexec_b64 s[24:25], s[4:5]
	s_cbranch_execnz .LBB14_15
; %bb.12:                               ;   in Loop: Header=BB14_3 Depth=1
	s_or_b64 exec, exec, s[24:25]
	s_and_saveexec_b64 s[4:5], s[20:21]
	s_cbranch_execnz .LBB14_16
.LBB14_13:                              ;   in Loop: Header=BB14_3 Depth=1
	s_or_b64 exec, exec, s[4:5]
	s_and_saveexec_b64 s[4:5], s[22:23]
	s_cbranch_execnz .LBB14_17
.LBB14_14:                              ;   in Loop: Header=BB14_3 Depth=1
	s_or_b64 exec, exec, s[4:5]
	s_and_saveexec_b64 s[4:5], s[0:1]
	s_cbranch_execz .LBB14_2
	s_branch .LBB14_18
.LBB14_15:                              ;   in Loop: Header=BB14_3 Depth=1
	v_mov_b32_e32 v2, s17
	v_add_co_u32_e32 v12, vcc, s16, v4
	v_addc_co_u32_e32 v13, vcc, v2, v1, vcc
	s_waitcnt vmcnt(0)
	global_store_byte v[12:13], v10, off
	s_or_b64 exec, exec, s[24:25]
	s_and_saveexec_b64 s[4:5], s[20:21]
	s_cbranch_execz .LBB14_13
.LBB14_16:                              ;   in Loop: Header=BB14_3 Depth=1
	v_mov_b32_e32 v2, s28
	v_add_co_u32_e32 v12, vcc, s27, v4
	v_addc_co_u32_e32 v13, vcc, v2, v1, vcc
	s_waitcnt vmcnt(0)
	global_store_byte v[12:13], v9, off
	s_or_b64 exec, exec, s[4:5]
	s_and_saveexec_b64 s[4:5], s[22:23]
	s_cbranch_execz .LBB14_14
.LBB14_17:                              ;   in Loop: Header=BB14_3 Depth=1
	v_mov_b32_e32 v2, s30
	v_add_co_u32_e32 v12, vcc, s29, v4
	v_addc_co_u32_e32 v13, vcc, v2, v1, vcc
	s_waitcnt vmcnt(0)
	global_store_byte v[12:13], v8, off
	s_or_b64 exec, exec, s[4:5]
	s_and_saveexec_b64 s[4:5], s[0:1]
	s_cbranch_execz .LBB14_2
.LBB14_18:                              ;   in Loop: Header=BB14_3 Depth=1
	v_mov_b32_e32 v2, s33
	v_add_co_u32_e32 v4, vcc, s31, v4
	v_addc_co_u32_e32 v5, vcc, v2, v1, vcc
	s_waitcnt vmcnt(0)
	global_store_byte v[4:5], v7, off
	s_branch .LBB14_2
.LBB14_19:
	s_endpgm
	.section	.rodata,"a",@progbits
	.p2align	6, 0x0
	.amdhsa_kernel batched_transpose_4x256_byte
		.amdhsa_group_segment_fixed_size 0
		.amdhsa_private_segment_fixed_size 0
		.amdhsa_kernarg_size 48
		.amdhsa_user_sgpr_count 6
		.amdhsa_user_sgpr_private_segment_buffer 1
		.amdhsa_user_sgpr_dispatch_ptr 0
		.amdhsa_user_sgpr_queue_ptr 0
		.amdhsa_user_sgpr_kernarg_segment_ptr 1
		.amdhsa_user_sgpr_dispatch_id 0
		.amdhsa_user_sgpr_flat_scratch_init 0
		.amdhsa_user_sgpr_kernarg_preload_length 0
		.amdhsa_user_sgpr_kernarg_preload_offset 0
		.amdhsa_user_sgpr_private_segment_size 0
		.amdhsa_uses_dynamic_stack 0
		.amdhsa_system_sgpr_private_segment_wavefront_offset 0
		.amdhsa_system_sgpr_workgroup_id_x 1
		.amdhsa_system_sgpr_workgroup_id_y 0
		.amdhsa_system_sgpr_workgroup_id_z 0
		.amdhsa_system_sgpr_workgroup_info 0
		.amdhsa_system_vgpr_workitem_id 0
		.amdhsa_next_free_vgpr 14
		.amdhsa_next_free_sgpr 44
		.amdhsa_accum_offset 16
		.amdhsa_reserve_vcc 1
		.amdhsa_reserve_flat_scratch 0
		.amdhsa_float_round_mode_32 0
		.amdhsa_float_round_mode_16_64 0
		.amdhsa_float_denorm_mode_32 3
		.amdhsa_float_denorm_mode_16_64 3
		.amdhsa_dx10_clamp 1
		.amdhsa_ieee_mode 1
		.amdhsa_fp16_overflow 0
		.amdhsa_tg_split 0
		.amdhsa_exception_fp_ieee_invalid_op 0
		.amdhsa_exception_fp_denorm_src 0
		.amdhsa_exception_fp_ieee_div_zero 0
		.amdhsa_exception_fp_ieee_overflow 0
		.amdhsa_exception_fp_ieee_underflow 0
		.amdhsa_exception_fp_ieee_inexact 0
		.amdhsa_exception_int_div_zero 0
	.end_amdhsa_kernel
	.text
.Lfunc_end14:
	.size	batched_transpose_4x256_byte, .Lfunc_end14-batched_transpose_4x256_byte
                                        ; -- End function
	.section	.AMDGPU.csdata,"",@progbits
; Kernel info:
; codeLenInByte = 688
; NumSgprs: 48
; NumVgprs: 14
; NumAgprs: 0
; TotalNumVgprs: 14
; ScratchSize: 0
; MemoryBound: 0
; FloatMode: 240
; IeeeMode: 1
; LDSByteSize: 0 bytes/workgroup (compile time only)
; SGPRBlocks: 5
; VGPRBlocks: 1
; NumSGPRsForWavesPerEU: 48
; NumVGPRsForWavesPerEU: 14
; AccumOffset: 16
; Occupancy: 8
; WaveLimiterHint : 0
; COMPUTE_PGM_RSRC2:SCRATCH_EN: 0
; COMPUTE_PGM_RSRC2:USER_SGPR: 6
; COMPUTE_PGM_RSRC2:TRAP_HANDLER: 0
; COMPUTE_PGM_RSRC2:TGID_X_EN: 1
; COMPUTE_PGM_RSRC2:TGID_Y_EN: 0
; COMPUTE_PGM_RSRC2:TGID_Z_EN: 0
; COMPUTE_PGM_RSRC2:TIDIG_COMP_CNT: 0
; COMPUTE_PGM_RSRC3_GFX90A:ACCUM_OFFSET: 3
; COMPUTE_PGM_RSRC3_GFX90A:TG_SPLIT: 0
	.text
	.protected	batched_transpose_256x4_dword ; -- Begin function batched_transpose_256x4_dword
	.globl	batched_transpose_256x4_dword
	.p2align	8
	.type	batched_transpose_256x4_dword,@function
batched_transpose_256x4_dword:          ; @batched_transpose_256x4_dword
; %bb.0:
	s_load_dwordx8 s[8:15], s[4:5], 0x10
	s_waitcnt lgkmcnt(0)
	s_cmp_ge_u32 s6, s11
	s_cbranch_scc1 .LBB15_19
; %bb.1:
	s_load_dwordx4 s[16:19], s[4:5], 0x0
	s_mov_b32 s3, 0
	s_add_i32 s0, s8, 3
	s_mov_b32 s4, s9
	s_mov_b32 s5, s3
	s_lshr_b32 s7, s0, 2
	s_add_i32 s20, s9, 0xff
	s_lshl_b64 s[0:1], s[4:5], 2
	s_waitcnt lgkmcnt(0)
	s_add_u32 s5, s18, s0
	s_addc_u32 s28, s19, s1
	s_lshl_b32 s2, s9, 1
	s_lshl_b64 s[0:1], s[2:3], 2
	s_add_u32 s29, s18, s0
	s_mul_i32 s2, s9, 3
	s_addc_u32 s30, s19, s1
	s_lshl_b64 s[0:1], s[2:3], 2
	s_add_u32 s31, s18, s0
	s_addc_u32 s33, s19, s1
	s_add_u32 s34, s16, 4
	s_addc_u32 s35, s17, 0
	;; [unrolled: 2-line block ×4, first 2 shown]
	s_and_b32 s0, s20, 0xffffff00
	s_sub_i32 s40, 0, s0
	v_lshl_or_b32 v4, s6, 8, v0
	s_lshl_b32 s41, s10, 8
	v_mov_b32_e32 v5, s9
	v_mov_b32_e32 v1, 0
                                        ; implicit-def: $vgpr6
                                        ; implicit-def: $vgpr7
                                        ; implicit-def: $vgpr8
                                        ; implicit-def: $vgpr9
	s_branch .LBB15_3
.LBB15_2:                               ;   in Loop: Header=BB15_3 Depth=1
	s_or_b64 exec, exec, s[20:21]
	s_add_i32 s6, s6, s10
	s_cmp_lt_u32 s6, s11
	v_add_u32_e32 v4, s41, v4
	s_cbranch_scc0 .LBB15_19
.LBB15_3:                               ; =>This Inner Loop Header: Depth=1
	s_mul_hi_u32 s0, s14, s6
	s_add_i32 s0, s6, s0
	s_lshr_b32 s0, s0, s15
	s_mul_hi_u32 s1, s0, s12
	s_add_i32 s1, s0, s1
	s_lshr_b32 s42, s1, s13
	s_mul_i32 s1, s42, s7
	s_sub_i32 s1, s0, s1
	s_mul_i32 s0, s40, s0
	s_lshl_b32 s2, s1, 2
	s_mul_i32 s1, s42, s8
	v_add_u32_e32 v0, s0, v4
	s_mul_hi_u32 s0, s42, s8
	s_add_u32 s1, s1, s2
	s_addc_u32 s0, s0, 0
	s_mul_i32 s20, s0, s4
	v_mad_u64_u32 v[2:3], s[0:1], s1, v5, v[0:1]
	s_cmp_lt_u32 s2, s8
	v_add_u32_e32 v3, s20, v3
	s_cselect_b64 s[0:1], -1, 0
	v_cmp_gt_u32_e32 vcc, s9, v0
	s_and_b64 s[20:21], vcc, s[0:1]
	v_lshlrev_b64 v[2:3], 2, v[2:3]
	s_and_saveexec_b64 s[22:23], s[20:21]
	s_cbranch_execz .LBB15_5
; %bb.4:                                ;   in Loop: Header=BB15_3 Depth=1
	s_waitcnt vmcnt(0)
	v_mov_b32_e32 v9, s19
	v_add_co_u32_e64 v10, s[0:1], s18, v2
	v_addc_co_u32_e64 v11, s[0:1], v9, v3, s[0:1]
	global_load_dword v9, v[10:11], off
.LBB15_5:                               ;   in Loop: Header=BB15_3 Depth=1
	s_or_b64 exec, exec, s[22:23]
	s_or_b32 s0, s2, 1
	s_cmp_lt_u32 s0, s8
	s_cselect_b64 s[0:1], -1, 0
	s_and_b64 s[22:23], vcc, s[0:1]
	s_and_saveexec_b64 s[24:25], s[22:23]
	s_cbranch_execz .LBB15_7
; %bb.6:                                ;   in Loop: Header=BB15_3 Depth=1
	s_waitcnt vmcnt(0)
	v_mov_b32_e32 v8, s28
	v_add_co_u32_e64 v10, s[0:1], s5, v2
	v_addc_co_u32_e64 v11, s[0:1], v8, v3, s[0:1]
	global_load_dword v8, v[10:11], off
.LBB15_7:                               ;   in Loop: Header=BB15_3 Depth=1
	s_or_b64 exec, exec, s[24:25]
	s_or_b32 s0, s2, 2
	s_cmp_lt_u32 s0, s8
	s_cselect_b64 s[0:1], -1, 0
	s_and_b64 s[24:25], vcc, s[0:1]
	s_and_saveexec_b64 s[26:27], s[24:25]
	s_cbranch_execz .LBB15_9
; %bb.8:                                ;   in Loop: Header=BB15_3 Depth=1
	s_waitcnt vmcnt(0)
	v_mov_b32_e32 v7, s30
	v_add_co_u32_e64 v10, s[0:1], s29, v2
	v_addc_co_u32_e64 v11, s[0:1], v7, v3, s[0:1]
	global_load_dword v7, v[10:11], off
.LBB15_9:                               ;   in Loop: Header=BB15_3 Depth=1
	s_or_b64 exec, exec, s[26:27]
	s_or_b32 s0, s2, 3
	s_cmp_lt_u32 s0, s8
	s_cselect_b64 s[0:1], -1, 0
	s_and_b64 s[0:1], vcc, s[0:1]
	s_and_saveexec_b64 s[26:27], s[0:1]
	s_cbranch_execz .LBB15_11
; %bb.10:                               ;   in Loop: Header=BB15_3 Depth=1
	s_waitcnt vmcnt(0)
	v_mov_b32_e32 v6, s33
	v_add_co_u32_e32 v2, vcc, s31, v2
	v_addc_co_u32_e32 v3, vcc, v6, v3, vcc
	global_load_dword v6, v[2:3], off
.LBB15_11:                              ;   in Loop: Header=BB15_3 Depth=1
	s_or_b64 exec, exec, s[26:27]
	v_mad_u64_u32 v[2:3], s[26:27], s42, v5, v[0:1]
	v_pk_mov_b32 v[10:11], s[2:3], s[2:3] op_sel:[0,1]
	v_mad_u64_u32 v[10:11], s[26:27], v2, s8, v[10:11]
	v_mov_b32_e32 v0, v11
	v_mad_u64_u32 v[2:3], s[26:27], v3, s8, v[0:1]
	v_mov_b32_e32 v11, v2
	v_lshlrev_b64 v[2:3], 2, v[10:11]
	s_and_saveexec_b64 s[26:27], s[20:21]
	s_cbranch_execnz .LBB15_15
; %bb.12:                               ;   in Loop: Header=BB15_3 Depth=1
	s_or_b64 exec, exec, s[26:27]
	s_and_saveexec_b64 s[20:21], s[22:23]
	s_cbranch_execnz .LBB15_16
.LBB15_13:                              ;   in Loop: Header=BB15_3 Depth=1
	s_or_b64 exec, exec, s[20:21]
	s_and_saveexec_b64 s[20:21], s[24:25]
	s_cbranch_execnz .LBB15_17
.LBB15_14:                              ;   in Loop: Header=BB15_3 Depth=1
	s_or_b64 exec, exec, s[20:21]
	s_and_saveexec_b64 s[20:21], s[0:1]
	s_cbranch_execz .LBB15_2
	s_branch .LBB15_18
.LBB15_15:                              ;   in Loop: Header=BB15_3 Depth=1
	v_mov_b32_e32 v0, s17
	v_add_co_u32_e32 v10, vcc, s16, v2
	v_addc_co_u32_e32 v11, vcc, v0, v3, vcc
	s_waitcnt vmcnt(0)
	global_store_dword v[10:11], v9, off
	s_or_b64 exec, exec, s[26:27]
	s_and_saveexec_b64 s[20:21], s[22:23]
	s_cbranch_execz .LBB15_13
.LBB15_16:                              ;   in Loop: Header=BB15_3 Depth=1
	v_mov_b32_e32 v0, s35
	v_add_co_u32_e32 v10, vcc, s34, v2
	v_addc_co_u32_e32 v11, vcc, v0, v3, vcc
	s_waitcnt vmcnt(0)
	global_store_dword v[10:11], v8, off
	s_or_b64 exec, exec, s[20:21]
	s_and_saveexec_b64 s[20:21], s[24:25]
	s_cbranch_execz .LBB15_14
.LBB15_17:                              ;   in Loop: Header=BB15_3 Depth=1
	v_mov_b32_e32 v0, s37
	v_add_co_u32_e32 v10, vcc, s36, v2
	v_addc_co_u32_e32 v11, vcc, v0, v3, vcc
	s_waitcnt vmcnt(0)
	global_store_dword v[10:11], v7, off
	s_or_b64 exec, exec, s[20:21]
	s_and_saveexec_b64 s[20:21], s[0:1]
	s_cbranch_execz .LBB15_2
.LBB15_18:                              ;   in Loop: Header=BB15_3 Depth=1
	v_mov_b32_e32 v0, s39
	v_add_co_u32_e32 v2, vcc, s38, v2
	v_addc_co_u32_e32 v3, vcc, v0, v3, vcc
	s_waitcnt vmcnt(0)
	global_store_dword v[2:3], v6, off
	s_branch .LBB15_2
.LBB15_19:
	s_endpgm
	.section	.rodata,"a",@progbits
	.p2align	6, 0x0
	.amdhsa_kernel batched_transpose_256x4_dword
		.amdhsa_group_segment_fixed_size 0
		.amdhsa_private_segment_fixed_size 0
		.amdhsa_kernarg_size 48
		.amdhsa_user_sgpr_count 6
		.amdhsa_user_sgpr_private_segment_buffer 1
		.amdhsa_user_sgpr_dispatch_ptr 0
		.amdhsa_user_sgpr_queue_ptr 0
		.amdhsa_user_sgpr_kernarg_segment_ptr 1
		.amdhsa_user_sgpr_dispatch_id 0
		.amdhsa_user_sgpr_flat_scratch_init 0
		.amdhsa_user_sgpr_kernarg_preload_length 0
		.amdhsa_user_sgpr_kernarg_preload_offset 0
		.amdhsa_user_sgpr_private_segment_size 0
		.amdhsa_uses_dynamic_stack 0
		.amdhsa_system_sgpr_private_segment_wavefront_offset 0
		.amdhsa_system_sgpr_workgroup_id_x 1
		.amdhsa_system_sgpr_workgroup_id_y 0
		.amdhsa_system_sgpr_workgroup_id_z 0
		.amdhsa_system_sgpr_workgroup_info 0
		.amdhsa_system_vgpr_workitem_id 0
		.amdhsa_next_free_vgpr 12
		.amdhsa_next_free_sgpr 43
		.amdhsa_accum_offset 12
		.amdhsa_reserve_vcc 1
		.amdhsa_reserve_flat_scratch 0
		.amdhsa_float_round_mode_32 0
		.amdhsa_float_round_mode_16_64 0
		.amdhsa_float_denorm_mode_32 3
		.amdhsa_float_denorm_mode_16_64 3
		.amdhsa_dx10_clamp 1
		.amdhsa_ieee_mode 1
		.amdhsa_fp16_overflow 0
		.amdhsa_tg_split 0
		.amdhsa_exception_fp_ieee_invalid_op 0
		.amdhsa_exception_fp_denorm_src 0
		.amdhsa_exception_fp_ieee_div_zero 0
		.amdhsa_exception_fp_ieee_overflow 0
		.amdhsa_exception_fp_ieee_underflow 0
		.amdhsa_exception_fp_ieee_inexact 0
		.amdhsa_exception_int_div_zero 0
	.end_amdhsa_kernel
	.text
.Lfunc_end15:
	.size	batched_transpose_256x4_dword, .Lfunc_end15-batched_transpose_256x4_dword
                                        ; -- End function
	.section	.AMDGPU.csdata,"",@progbits
; Kernel info:
; codeLenInByte = 736
; NumSgprs: 47
; NumVgprs: 12
; NumAgprs: 0
; TotalNumVgprs: 12
; ScratchSize: 0
; MemoryBound: 0
; FloatMode: 240
; IeeeMode: 1
; LDSByteSize: 0 bytes/workgroup (compile time only)
; SGPRBlocks: 5
; VGPRBlocks: 1
; NumSGPRsForWavesPerEU: 47
; NumVGPRsForWavesPerEU: 12
; AccumOffset: 12
; Occupancy: 8
; WaveLimiterHint : 0
; COMPUTE_PGM_RSRC2:SCRATCH_EN: 0
; COMPUTE_PGM_RSRC2:USER_SGPR: 6
; COMPUTE_PGM_RSRC2:TRAP_HANDLER: 0
; COMPUTE_PGM_RSRC2:TGID_X_EN: 1
; COMPUTE_PGM_RSRC2:TGID_Y_EN: 0
; COMPUTE_PGM_RSRC2:TGID_Z_EN: 0
; COMPUTE_PGM_RSRC2:TIDIG_COMP_CNT: 0
; COMPUTE_PGM_RSRC3_GFX90A:ACCUM_OFFSET: 2
; COMPUTE_PGM_RSRC3_GFX90A:TG_SPLIT: 0
	.text
	.protected	batched_transpose_256x4_half ; -- Begin function batched_transpose_256x4_half
	.globl	batched_transpose_256x4_half
	.p2align	8
	.type	batched_transpose_256x4_half,@function
batched_transpose_256x4_half:           ; @batched_transpose_256x4_half
; %bb.0:
	s_load_dwordx8 s[8:15], s[4:5], 0x10
	s_waitcnt lgkmcnt(0)
	s_cmp_ge_u32 s6, s11
	s_cbranch_scc1 .LBB16_19
; %bb.1:
	s_load_dwordx4 s[16:19], s[4:5], 0x0
	s_mov_b32 s3, 0
	s_add_i32 s0, s8, 3
	s_mov_b32 s4, s9
	s_mov_b32 s5, s3
	s_lshr_b32 s7, s0, 2
	s_add_i32 s20, s9, 0xff
	s_lshl_b64 s[0:1], s[4:5], 1
	s_waitcnt lgkmcnt(0)
	s_add_u32 s5, s18, s0
	s_addc_u32 s28, s19, s1
	s_lshl_b32 s2, s9, 1
	s_lshl_b64 s[0:1], s[2:3], 1
	s_add_u32 s29, s18, s0
	s_mul_i32 s2, s9, 3
	s_addc_u32 s30, s19, s1
	s_lshl_b64 s[0:1], s[2:3], 1
	s_add_u32 s31, s18, s0
	s_addc_u32 s33, s19, s1
	s_add_u32 s34, s16, 2
	s_addc_u32 s35, s17, 0
	;; [unrolled: 2-line block ×4, first 2 shown]
	s_and_b32 s0, s20, 0xffffff00
	s_sub_i32 s40, 0, s0
	v_lshl_or_b32 v4, s6, 8, v0
	s_lshl_b32 s41, s10, 8
	v_mov_b32_e32 v5, s9
	v_mov_b32_e32 v1, 0
                                        ; implicit-def: $vgpr6
                                        ; implicit-def: $vgpr7
                                        ; implicit-def: $vgpr8
                                        ; implicit-def: $vgpr9
	s_branch .LBB16_3
.LBB16_2:                               ;   in Loop: Header=BB16_3 Depth=1
	s_or_b64 exec, exec, s[20:21]
	s_add_i32 s6, s6, s10
	s_cmp_lt_u32 s6, s11
	v_add_u32_e32 v4, s41, v4
	s_cbranch_scc0 .LBB16_19
.LBB16_3:                               ; =>This Inner Loop Header: Depth=1
	s_mul_hi_u32 s0, s14, s6
	s_add_i32 s0, s6, s0
	s_lshr_b32 s0, s0, s15
	s_mul_hi_u32 s1, s0, s12
	s_add_i32 s1, s0, s1
	s_lshr_b32 s42, s1, s13
	s_mul_i32 s1, s42, s7
	s_sub_i32 s1, s0, s1
	s_mul_i32 s0, s40, s0
	s_lshl_b32 s2, s1, 2
	s_mul_i32 s1, s42, s8
	v_add_u32_e32 v0, s0, v4
	s_mul_hi_u32 s0, s42, s8
	s_add_u32 s1, s1, s2
	s_addc_u32 s0, s0, 0
	s_mul_i32 s20, s0, s4
	v_mad_u64_u32 v[2:3], s[0:1], s1, v5, v[0:1]
	s_cmp_lt_u32 s2, s8
	v_add_u32_e32 v3, s20, v3
	s_cselect_b64 s[0:1], -1, 0
	v_cmp_gt_u32_e32 vcc, s9, v0
	s_and_b64 s[20:21], vcc, s[0:1]
	v_lshlrev_b64 v[2:3], 1, v[2:3]
	s_and_saveexec_b64 s[22:23], s[20:21]
	s_cbranch_execz .LBB16_5
; %bb.4:                                ;   in Loop: Header=BB16_3 Depth=1
	s_waitcnt vmcnt(0)
	v_mov_b32_e32 v9, s19
	v_add_co_u32_e64 v10, s[0:1], s18, v2
	v_addc_co_u32_e64 v11, s[0:1], v9, v3, s[0:1]
	global_load_ushort v9, v[10:11], off
.LBB16_5:                               ;   in Loop: Header=BB16_3 Depth=1
	s_or_b64 exec, exec, s[22:23]
	s_or_b32 s0, s2, 1
	s_cmp_lt_u32 s0, s8
	s_cselect_b64 s[0:1], -1, 0
	s_and_b64 s[22:23], vcc, s[0:1]
	s_and_saveexec_b64 s[24:25], s[22:23]
	s_cbranch_execz .LBB16_7
; %bb.6:                                ;   in Loop: Header=BB16_3 Depth=1
	s_waitcnt vmcnt(0)
	v_mov_b32_e32 v8, s28
	v_add_co_u32_e64 v10, s[0:1], s5, v2
	v_addc_co_u32_e64 v11, s[0:1], v8, v3, s[0:1]
	global_load_ushort v8, v[10:11], off
.LBB16_7:                               ;   in Loop: Header=BB16_3 Depth=1
	s_or_b64 exec, exec, s[24:25]
	s_or_b32 s0, s2, 2
	s_cmp_lt_u32 s0, s8
	s_cselect_b64 s[0:1], -1, 0
	s_and_b64 s[24:25], vcc, s[0:1]
	;; [unrolled: 14-line block ×3, first 2 shown]
	s_and_saveexec_b64 s[26:27], s[0:1]
	s_cbranch_execz .LBB16_11
; %bb.10:                               ;   in Loop: Header=BB16_3 Depth=1
	s_waitcnt vmcnt(0)
	v_mov_b32_e32 v6, s33
	v_add_co_u32_e32 v2, vcc, s31, v2
	v_addc_co_u32_e32 v3, vcc, v6, v3, vcc
	global_load_ushort v6, v[2:3], off
.LBB16_11:                              ;   in Loop: Header=BB16_3 Depth=1
	s_or_b64 exec, exec, s[26:27]
	v_mad_u64_u32 v[2:3], s[26:27], s42, v5, v[0:1]
	v_pk_mov_b32 v[10:11], s[2:3], s[2:3] op_sel:[0,1]
	v_mad_u64_u32 v[10:11], s[26:27], v2, s8, v[10:11]
	v_mov_b32_e32 v0, v11
	v_mad_u64_u32 v[2:3], s[26:27], v3, s8, v[0:1]
	v_mov_b32_e32 v11, v2
	v_lshlrev_b64 v[2:3], 1, v[10:11]
	s_and_saveexec_b64 s[26:27], s[20:21]
	s_cbranch_execnz .LBB16_15
; %bb.12:                               ;   in Loop: Header=BB16_3 Depth=1
	s_or_b64 exec, exec, s[26:27]
	s_and_saveexec_b64 s[20:21], s[22:23]
	s_cbranch_execnz .LBB16_16
.LBB16_13:                              ;   in Loop: Header=BB16_3 Depth=1
	s_or_b64 exec, exec, s[20:21]
	s_and_saveexec_b64 s[20:21], s[24:25]
	s_cbranch_execnz .LBB16_17
.LBB16_14:                              ;   in Loop: Header=BB16_3 Depth=1
	s_or_b64 exec, exec, s[20:21]
	s_and_saveexec_b64 s[20:21], s[0:1]
	s_cbranch_execz .LBB16_2
	s_branch .LBB16_18
.LBB16_15:                              ;   in Loop: Header=BB16_3 Depth=1
	v_mov_b32_e32 v0, s17
	v_add_co_u32_e32 v10, vcc, s16, v2
	v_addc_co_u32_e32 v11, vcc, v0, v3, vcc
	s_waitcnt vmcnt(0)
	global_store_short v[10:11], v9, off
	s_or_b64 exec, exec, s[26:27]
	s_and_saveexec_b64 s[20:21], s[22:23]
	s_cbranch_execz .LBB16_13
.LBB16_16:                              ;   in Loop: Header=BB16_3 Depth=1
	v_mov_b32_e32 v0, s35
	v_add_co_u32_e32 v10, vcc, s34, v2
	v_addc_co_u32_e32 v11, vcc, v0, v3, vcc
	s_waitcnt vmcnt(0)
	global_store_short v[10:11], v8, off
	s_or_b64 exec, exec, s[20:21]
	s_and_saveexec_b64 s[20:21], s[24:25]
	s_cbranch_execz .LBB16_14
.LBB16_17:                              ;   in Loop: Header=BB16_3 Depth=1
	v_mov_b32_e32 v0, s37
	v_add_co_u32_e32 v10, vcc, s36, v2
	v_addc_co_u32_e32 v11, vcc, v0, v3, vcc
	s_waitcnt vmcnt(0)
	global_store_short v[10:11], v7, off
	s_or_b64 exec, exec, s[20:21]
	s_and_saveexec_b64 s[20:21], s[0:1]
	s_cbranch_execz .LBB16_2
.LBB16_18:                              ;   in Loop: Header=BB16_3 Depth=1
	v_mov_b32_e32 v0, s39
	v_add_co_u32_e32 v2, vcc, s38, v2
	v_addc_co_u32_e32 v3, vcc, v0, v3, vcc
	s_waitcnt vmcnt(0)
	global_store_short v[2:3], v6, off
	s_branch .LBB16_2
.LBB16_19:
	s_endpgm
	.section	.rodata,"a",@progbits
	.p2align	6, 0x0
	.amdhsa_kernel batched_transpose_256x4_half
		.amdhsa_group_segment_fixed_size 0
		.amdhsa_private_segment_fixed_size 0
		.amdhsa_kernarg_size 48
		.amdhsa_user_sgpr_count 6
		.amdhsa_user_sgpr_private_segment_buffer 1
		.amdhsa_user_sgpr_dispatch_ptr 0
		.amdhsa_user_sgpr_queue_ptr 0
		.amdhsa_user_sgpr_kernarg_segment_ptr 1
		.amdhsa_user_sgpr_dispatch_id 0
		.amdhsa_user_sgpr_flat_scratch_init 0
		.amdhsa_user_sgpr_kernarg_preload_length 0
		.amdhsa_user_sgpr_kernarg_preload_offset 0
		.amdhsa_user_sgpr_private_segment_size 0
		.amdhsa_uses_dynamic_stack 0
		.amdhsa_system_sgpr_private_segment_wavefront_offset 0
		.amdhsa_system_sgpr_workgroup_id_x 1
		.amdhsa_system_sgpr_workgroup_id_y 0
		.amdhsa_system_sgpr_workgroup_id_z 0
		.amdhsa_system_sgpr_workgroup_info 0
		.amdhsa_system_vgpr_workitem_id 0
		.amdhsa_next_free_vgpr 12
		.amdhsa_next_free_sgpr 43
		.amdhsa_accum_offset 12
		.amdhsa_reserve_vcc 1
		.amdhsa_reserve_flat_scratch 0
		.amdhsa_float_round_mode_32 0
		.amdhsa_float_round_mode_16_64 0
		.amdhsa_float_denorm_mode_32 3
		.amdhsa_float_denorm_mode_16_64 3
		.amdhsa_dx10_clamp 1
		.amdhsa_ieee_mode 1
		.amdhsa_fp16_overflow 0
		.amdhsa_tg_split 0
		.amdhsa_exception_fp_ieee_invalid_op 0
		.amdhsa_exception_fp_denorm_src 0
		.amdhsa_exception_fp_ieee_div_zero 0
		.amdhsa_exception_fp_ieee_overflow 0
		.amdhsa_exception_fp_ieee_underflow 0
		.amdhsa_exception_fp_ieee_inexact 0
		.amdhsa_exception_int_div_zero 0
	.end_amdhsa_kernel
	.text
.Lfunc_end16:
	.size	batched_transpose_256x4_half, .Lfunc_end16-batched_transpose_256x4_half
                                        ; -- End function
	.section	.AMDGPU.csdata,"",@progbits
; Kernel info:
; codeLenInByte = 736
; NumSgprs: 47
; NumVgprs: 12
; NumAgprs: 0
; TotalNumVgprs: 12
; ScratchSize: 0
; MemoryBound: 0
; FloatMode: 240
; IeeeMode: 1
; LDSByteSize: 0 bytes/workgroup (compile time only)
; SGPRBlocks: 5
; VGPRBlocks: 1
; NumSGPRsForWavesPerEU: 47
; NumVGPRsForWavesPerEU: 12
; AccumOffset: 12
; Occupancy: 8
; WaveLimiterHint : 0
; COMPUTE_PGM_RSRC2:SCRATCH_EN: 0
; COMPUTE_PGM_RSRC2:USER_SGPR: 6
; COMPUTE_PGM_RSRC2:TRAP_HANDLER: 0
; COMPUTE_PGM_RSRC2:TGID_X_EN: 1
; COMPUTE_PGM_RSRC2:TGID_Y_EN: 0
; COMPUTE_PGM_RSRC2:TGID_Z_EN: 0
; COMPUTE_PGM_RSRC2:TIDIG_COMP_CNT: 0
; COMPUTE_PGM_RSRC3_GFX90A:ACCUM_OFFSET: 2
; COMPUTE_PGM_RSRC3_GFX90A:TG_SPLIT: 0
	.text
	.protected	batched_transpose_256x4_byte ; -- Begin function batched_transpose_256x4_byte
	.globl	batched_transpose_256x4_byte
	.p2align	8
	.type	batched_transpose_256x4_byte,@function
batched_transpose_256x4_byte:           ; @batched_transpose_256x4_byte
; %bb.0:
	s_load_dwordx8 s[8:15], s[4:5], 0x10
	s_waitcnt lgkmcnt(0)
	s_cmp_ge_u32 s6, s11
	s_cbranch_scc1 .LBB17_19
; %bb.1:
	s_load_dwordx4 s[16:19], s[4:5], 0x0
	s_add_i32 s0, s8, 3
	s_lshr_b32 s7, s0, 2
	s_add_i32 s0, s9, 0xff
	s_mov_b32 s3, 0
	s_waitcnt lgkmcnt(0)
	s_add_u32 s27, s18, s9
	s_addc_u32 s28, s19, 0
	s_lshl_b32 s1, s9, 1
	s_add_u32 s29, s18, s1
	s_addc_u32 s30, s19, 0
	s_mul_i32 s1, s9, 3
	s_add_u32 s31, s18, s1
	s_addc_u32 s33, s19, 0
	s_add_u32 s34, s16, 1
	s_addc_u32 s35, s17, 0
	;; [unrolled: 2-line block ×4, first 2 shown]
	s_and_b32 s0, s0, 0xffffff00
	s_mov_b32 s26, s9
	s_sub_i32 s40, 0, s0
	v_lshl_or_b32 v4, s6, 8, v0
	s_lshl_b32 s41, s10, 8
	v_mov_b32_e32 v5, s9
	v_mov_b32_e32 v1, 0
                                        ; implicit-def: $vgpr6
                                        ; implicit-def: $vgpr7
                                        ; implicit-def: $vgpr8
                                        ; implicit-def: $vgpr9
	s_branch .LBB17_3
.LBB17_2:                               ;   in Loop: Header=BB17_3 Depth=1
	s_or_b64 exec, exec, s[4:5]
	s_add_i32 s6, s6, s10
	s_cmp_lt_u32 s6, s11
	v_add_u32_e32 v4, s41, v4
	s_cbranch_scc0 .LBB17_19
.LBB17_3:                               ; =>This Inner Loop Header: Depth=1
	s_mul_hi_u32 s0, s14, s6
	s_add_i32 s0, s6, s0
	s_lshr_b32 s0, s0, s15
	s_mul_hi_u32 s1, s0, s12
	s_add_i32 s1, s0, s1
	s_lshr_b32 s42, s1, s13
	s_mul_i32 s1, s42, s7
	s_sub_i32 s1, s0, s1
	s_mul_i32 s0, s40, s0
	s_lshl_b32 s2, s1, 2
	s_mul_i32 s1, s42, s8
	v_add_u32_e32 v0, s0, v4
	s_mul_hi_u32 s0, s42, s8
	s_add_u32 s1, s1, s2
	s_addc_u32 s0, s0, 0
	s_mul_i32 s4, s0, s26
	v_mad_u64_u32 v[2:3], s[0:1], s1, v5, v[0:1]
	s_cmp_lt_u32 s2, s8
	s_cselect_b64 s[0:1], -1, 0
	v_cmp_gt_u32_e32 vcc, s9, v0
	v_add_u32_e32 v3, s4, v3
	s_and_b64 s[4:5], vcc, s[0:1]
	s_and_saveexec_b64 s[20:21], s[4:5]
	s_cbranch_execz .LBB17_5
; %bb.4:                                ;   in Loop: Header=BB17_3 Depth=1
	s_waitcnt vmcnt(0)
	v_mov_b32_e32 v9, s19
	v_add_co_u32_e64 v10, s[0:1], s18, v2
	v_addc_co_u32_e64 v11, s[0:1], v9, v3, s[0:1]
	global_load_ubyte v9, v[10:11], off
.LBB17_5:                               ;   in Loop: Header=BB17_3 Depth=1
	s_or_b64 exec, exec, s[20:21]
	s_or_b32 s0, s2, 1
	s_cmp_lt_u32 s0, s8
	s_cselect_b64 s[0:1], -1, 0
	s_and_b64 s[20:21], vcc, s[0:1]
	s_and_saveexec_b64 s[22:23], s[20:21]
	s_cbranch_execz .LBB17_7
; %bb.6:                                ;   in Loop: Header=BB17_3 Depth=1
	s_waitcnt vmcnt(0)
	v_mov_b32_e32 v8, s28
	v_add_co_u32_e64 v10, s[0:1], s27, v2
	v_addc_co_u32_e64 v11, s[0:1], v8, v3, s[0:1]
	global_load_ubyte v8, v[10:11], off
.LBB17_7:                               ;   in Loop: Header=BB17_3 Depth=1
	s_or_b64 exec, exec, s[22:23]
	s_or_b32 s0, s2, 2
	s_cmp_lt_u32 s0, s8
	s_cselect_b64 s[0:1], -1, 0
	;; [unrolled: 14-line block ×3, first 2 shown]
	s_and_b64 s[0:1], vcc, s[0:1]
	s_and_saveexec_b64 s[24:25], s[0:1]
	s_cbranch_execz .LBB17_11
; %bb.10:                               ;   in Loop: Header=BB17_3 Depth=1
	s_waitcnt vmcnt(0)
	v_mov_b32_e32 v6, s33
	v_add_co_u32_e32 v2, vcc, s31, v2
	v_addc_co_u32_e32 v3, vcc, v6, v3, vcc
	global_load_ubyte v6, v[2:3], off
.LBB17_11:                              ;   in Loop: Header=BB17_3 Depth=1
	s_or_b64 exec, exec, s[24:25]
	v_mad_u64_u32 v[10:11], s[24:25], s42, v5, v[0:1]
	v_pk_mov_b32 v[2:3], s[2:3], s[2:3] op_sel:[0,1]
	v_mad_u64_u32 v[2:3], s[24:25], v10, s8, v[2:3]
	v_mov_b32_e32 v0, v3
	v_mad_u64_u32 v[10:11], s[24:25], v11, s8, v[0:1]
	v_mov_b32_e32 v3, v10
	s_and_saveexec_b64 s[24:25], s[4:5]
	s_cbranch_execnz .LBB17_15
; %bb.12:                               ;   in Loop: Header=BB17_3 Depth=1
	s_or_b64 exec, exec, s[24:25]
	s_and_saveexec_b64 s[4:5], s[20:21]
	s_cbranch_execnz .LBB17_16
.LBB17_13:                              ;   in Loop: Header=BB17_3 Depth=1
	s_or_b64 exec, exec, s[4:5]
	s_and_saveexec_b64 s[4:5], s[22:23]
	s_cbranch_execnz .LBB17_17
.LBB17_14:                              ;   in Loop: Header=BB17_3 Depth=1
	s_or_b64 exec, exec, s[4:5]
	s_and_saveexec_b64 s[4:5], s[0:1]
	s_cbranch_execz .LBB17_2
	s_branch .LBB17_18
.LBB17_15:                              ;   in Loop: Header=BB17_3 Depth=1
	v_mov_b32_e32 v0, s17
	v_add_co_u32_e32 v10, vcc, s16, v2
	v_addc_co_u32_e32 v11, vcc, v0, v3, vcc
	s_waitcnt vmcnt(0)
	global_store_byte v[10:11], v9, off
	s_or_b64 exec, exec, s[24:25]
	s_and_saveexec_b64 s[4:5], s[20:21]
	s_cbranch_execz .LBB17_13
.LBB17_16:                              ;   in Loop: Header=BB17_3 Depth=1
	v_mov_b32_e32 v0, s35
	v_add_co_u32_e32 v10, vcc, s34, v2
	v_addc_co_u32_e32 v11, vcc, v0, v3, vcc
	s_waitcnt vmcnt(0)
	global_store_byte v[10:11], v8, off
	s_or_b64 exec, exec, s[4:5]
	s_and_saveexec_b64 s[4:5], s[22:23]
	s_cbranch_execz .LBB17_14
.LBB17_17:                              ;   in Loop: Header=BB17_3 Depth=1
	v_mov_b32_e32 v0, s37
	v_add_co_u32_e32 v10, vcc, s36, v2
	v_addc_co_u32_e32 v11, vcc, v0, v3, vcc
	s_waitcnt vmcnt(0)
	global_store_byte v[10:11], v7, off
	s_or_b64 exec, exec, s[4:5]
	s_and_saveexec_b64 s[4:5], s[0:1]
	s_cbranch_execz .LBB17_2
.LBB17_18:                              ;   in Loop: Header=BB17_3 Depth=1
	v_mov_b32_e32 v0, s39
	v_add_co_u32_e32 v2, vcc, s38, v2
	v_addc_co_u32_e32 v3, vcc, v0, v3, vcc
	s_waitcnt vmcnt(0)
	global_store_byte v[2:3], v6, off
	s_branch .LBB17_2
.LBB17_19:
	s_endpgm
	.section	.rodata,"a",@progbits
	.p2align	6, 0x0
	.amdhsa_kernel batched_transpose_256x4_byte
		.amdhsa_group_segment_fixed_size 0
		.amdhsa_private_segment_fixed_size 0
		.amdhsa_kernarg_size 48
		.amdhsa_user_sgpr_count 6
		.amdhsa_user_sgpr_private_segment_buffer 1
		.amdhsa_user_sgpr_dispatch_ptr 0
		.amdhsa_user_sgpr_queue_ptr 0
		.amdhsa_user_sgpr_kernarg_segment_ptr 1
		.amdhsa_user_sgpr_dispatch_id 0
		.amdhsa_user_sgpr_flat_scratch_init 0
		.amdhsa_user_sgpr_kernarg_preload_length 0
		.amdhsa_user_sgpr_kernarg_preload_offset 0
		.amdhsa_user_sgpr_private_segment_size 0
		.amdhsa_uses_dynamic_stack 0
		.amdhsa_system_sgpr_private_segment_wavefront_offset 0
		.amdhsa_system_sgpr_workgroup_id_x 1
		.amdhsa_system_sgpr_workgroup_id_y 0
		.amdhsa_system_sgpr_workgroup_id_z 0
		.amdhsa_system_sgpr_workgroup_info 0
		.amdhsa_system_vgpr_workitem_id 0
		.amdhsa_next_free_vgpr 12
		.amdhsa_next_free_sgpr 43
		.amdhsa_accum_offset 12
		.amdhsa_reserve_vcc 1
		.amdhsa_reserve_flat_scratch 0
		.amdhsa_float_round_mode_32 0
		.amdhsa_float_round_mode_16_64 0
		.amdhsa_float_denorm_mode_32 3
		.amdhsa_float_denorm_mode_16_64 3
		.amdhsa_dx10_clamp 1
		.amdhsa_ieee_mode 1
		.amdhsa_fp16_overflow 0
		.amdhsa_tg_split 0
		.amdhsa_exception_fp_ieee_invalid_op 0
		.amdhsa_exception_fp_denorm_src 0
		.amdhsa_exception_fp_ieee_div_zero 0
		.amdhsa_exception_fp_ieee_overflow 0
		.amdhsa_exception_fp_ieee_underflow 0
		.amdhsa_exception_fp_ieee_inexact 0
		.amdhsa_exception_int_div_zero 0
	.end_amdhsa_kernel
	.text
.Lfunc_end17:
	.size	batched_transpose_256x4_byte, .Lfunc_end17-batched_transpose_256x4_byte
                                        ; -- End function
	.section	.AMDGPU.csdata,"",@progbits
; Kernel info:
; codeLenInByte = 704
; NumSgprs: 47
; NumVgprs: 12
; NumAgprs: 0
; TotalNumVgprs: 12
; ScratchSize: 0
; MemoryBound: 0
; FloatMode: 240
; IeeeMode: 1
; LDSByteSize: 0 bytes/workgroup (compile time only)
; SGPRBlocks: 5
; VGPRBlocks: 1
; NumSGPRsForWavesPerEU: 47
; NumVGPRsForWavesPerEU: 12
; AccumOffset: 12
; Occupancy: 8
; WaveLimiterHint : 0
; COMPUTE_PGM_RSRC2:SCRATCH_EN: 0
; COMPUTE_PGM_RSRC2:USER_SGPR: 6
; COMPUTE_PGM_RSRC2:TRAP_HANDLER: 0
; COMPUTE_PGM_RSRC2:TGID_X_EN: 1
; COMPUTE_PGM_RSRC2:TGID_Y_EN: 0
; COMPUTE_PGM_RSRC2:TGID_Z_EN: 0
; COMPUTE_PGM_RSRC2:TIDIG_COMP_CNT: 0
; COMPUTE_PGM_RSRC3_GFX90A:ACCUM_OFFSET: 2
; COMPUTE_PGM_RSRC3_GFX90A:TG_SPLIT: 0
	.text
	.protected	batched_transpose_4x128_dword ; -- Begin function batched_transpose_4x128_dword
	.globl	batched_transpose_4x128_dword
	.p2align	8
	.type	batched_transpose_4x128_dword,@function
batched_transpose_4x128_dword:          ; @batched_transpose_4x128_dword
; %bb.0:
	s_load_dwordx8 s[8:15], s[4:5], 0x10
	s_waitcnt lgkmcnt(0)
	s_cmp_ge_u32 s6, s11
	s_cbranch_scc1 .LBB18_11
; %bb.1:
	s_load_dwordx4 s[16:19], s[4:5], 0x0
	s_add_i32 s0, s8, 0x7f
	s_lshr_b32 s7, s0, 7
	s_mov_b32 s1, 0
	s_lshl_b32 s0, s8, 1
	s_add_i32 s2, s9, 3
	s_lshl_b64 s[0:1], s[0:1], 2
	s_waitcnt lgkmcnt(0)
	s_add_u32 s21, s16, s0
	s_addc_u32 s22, s17, s1
	s_add_u32 s23, s18, 8
	v_lshrrev_b32_e32 v1, 7, v0
	s_addc_u32 s24, s19, 0
	s_and_b32 s0, s2, -4
	v_and_b32_e32 v6, 0x7f, v0
	s_mov_b32 s20, s9
	s_sub_i32 s25, 0, s0
	v_lshl_or_b32 v7, s6, 2, v1
	s_lshl_b32 s26, s10, 2
	v_mov_b32_e32 v8, s8
	v_mov_b32_e32 v9, s9
	;; [unrolled: 1-line block ×3, first 2 shown]
                                        ; implicit-def: $vgpr10
                                        ; implicit-def: $vgpr11
	s_branch .LBB18_3
.LBB18_2:                               ;   in Loop: Header=BB18_3 Depth=1
	s_or_b64 exec, exec, s[2:3]
	s_add_i32 s6, s6, s10
	s_cmp_lt_u32 s6, s11
	v_add_u32_e32 v7, s26, v7
	s_cbranch_scc0 .LBB18_11
.LBB18_3:                               ; =>This Inner Loop Header: Depth=1
	s_mul_hi_u32 s0, s14, s6
	s_add_i32 s0, s6, s0
	s_lshr_b32 s0, s0, s15
	s_mul_hi_u32 s1, s0, s12
	s_add_i32 s1, s0, s1
	s_lshr_b32 s27, s1, s13
	s_mul_i32 s1, s27, s7
	s_sub_i32 s1, s0, s1
	s_mul_i32 s0, s25, s0
	v_lshl_or_b32 v0, s1, 7, v6
	v_add_u32_e32 v2, s0, v7
	v_mad_u64_u32 v[4:5], s[0:1], s27, v8, v[0:1]
	v_mov_b32_e32 v3, v1
	v_mad_u64_u32 v[12:13], s[0:1], v4, s20, v[2:3]
	v_mov_b32_e32 v4, v13
	;; [unrolled: 2-line block ×3, first 2 shown]
	v_cmp_gt_u32_e32 vcc, s8, v0
	v_cmp_gt_u32_e64 s[0:1], s9, v2
	s_and_b64 s[2:3], s[0:1], vcc
	v_lshlrev_b64 v[4:5], 2, v[12:13]
	s_and_saveexec_b64 s[4:5], s[2:3]
	s_cbranch_execz .LBB18_5
; %bb.4:                                ;   in Loop: Header=BB18_3 Depth=1
	s_waitcnt vmcnt(0)
	v_mov_b32_e32 v11, s19
	v_add_co_u32_e64 v12, s[0:1], s18, v4
	v_addc_co_u32_e64 v13, s[0:1], v11, v5, s[0:1]
	global_load_dword v11, v[12:13], off
.LBB18_5:                               ;   in Loop: Header=BB18_3 Depth=1
	s_or_b64 exec, exec, s[4:5]
	v_add_u32_e32 v12, 2, v2
	v_cmp_gt_u32_e64 s[0:1], s9, v12
	s_and_b64 s[0:1], s[0:1], vcc
	s_and_saveexec_b64 s[4:5], s[0:1]
	s_cbranch_execz .LBB18_7
; %bb.6:                                ;   in Loop: Header=BB18_3 Depth=1
	s_waitcnt vmcnt(0)
	v_mov_b32_e32 v10, s24
	v_add_co_u32_e32 v4, vcc, s23, v4
	v_addc_co_u32_e32 v5, vcc, v10, v5, vcc
	global_load_dword v10, v[4:5], off
.LBB18_7:                               ;   in Loop: Header=BB18_3 Depth=1
	s_or_b64 exec, exec, s[4:5]
	v_mad_u64_u32 v[2:3], s[4:5], s27, v9, v[2:3]
	v_mad_u64_u32 v[4:5], s[4:5], v2, s8, v[0:1]
	v_mov_b32_e32 v0, v5
	v_mad_u64_u32 v[2:3], s[4:5], v3, s8, v[0:1]
	v_mov_b32_e32 v5, v2
	v_lshlrev_b64 v[2:3], 2, v[4:5]
	s_and_saveexec_b64 s[4:5], s[2:3]
	s_cbranch_execz .LBB18_9
; %bb.8:                                ;   in Loop: Header=BB18_3 Depth=1
	v_mov_b32_e32 v0, s17
	v_add_co_u32_e32 v4, vcc, s16, v2
	v_addc_co_u32_e32 v5, vcc, v0, v3, vcc
	s_waitcnt vmcnt(0)
	global_store_dword v[4:5], v11, off
.LBB18_9:                               ;   in Loop: Header=BB18_3 Depth=1
	s_or_b64 exec, exec, s[4:5]
	s_and_saveexec_b64 s[2:3], s[0:1]
	s_cbranch_execz .LBB18_2
; %bb.10:                               ;   in Loop: Header=BB18_3 Depth=1
	v_mov_b32_e32 v0, s22
	v_add_co_u32_e32 v2, vcc, s21, v2
	v_addc_co_u32_e32 v3, vcc, v0, v3, vcc
	s_waitcnt vmcnt(0)
	global_store_dword v[2:3], v10, off
	s_branch .LBB18_2
.LBB18_11:
	s_endpgm
	.section	.rodata,"a",@progbits
	.p2align	6, 0x0
	.amdhsa_kernel batched_transpose_4x128_dword
		.amdhsa_group_segment_fixed_size 0
		.amdhsa_private_segment_fixed_size 0
		.amdhsa_kernarg_size 48
		.amdhsa_user_sgpr_count 6
		.amdhsa_user_sgpr_private_segment_buffer 1
		.amdhsa_user_sgpr_dispatch_ptr 0
		.amdhsa_user_sgpr_queue_ptr 0
		.amdhsa_user_sgpr_kernarg_segment_ptr 1
		.amdhsa_user_sgpr_dispatch_id 0
		.amdhsa_user_sgpr_flat_scratch_init 0
		.amdhsa_user_sgpr_kernarg_preload_length 0
		.amdhsa_user_sgpr_kernarg_preload_offset 0
		.amdhsa_user_sgpr_private_segment_size 0
		.amdhsa_uses_dynamic_stack 0
		.amdhsa_system_sgpr_private_segment_wavefront_offset 0
		.amdhsa_system_sgpr_workgroup_id_x 1
		.amdhsa_system_sgpr_workgroup_id_y 0
		.amdhsa_system_sgpr_workgroup_id_z 0
		.amdhsa_system_sgpr_workgroup_info 0
		.amdhsa_system_vgpr_workitem_id 0
		.amdhsa_next_free_vgpr 14
		.amdhsa_next_free_sgpr 28
		.amdhsa_accum_offset 16
		.amdhsa_reserve_vcc 1
		.amdhsa_reserve_flat_scratch 0
		.amdhsa_float_round_mode_32 0
		.amdhsa_float_round_mode_16_64 0
		.amdhsa_float_denorm_mode_32 3
		.amdhsa_float_denorm_mode_16_64 3
		.amdhsa_dx10_clamp 1
		.amdhsa_ieee_mode 1
		.amdhsa_fp16_overflow 0
		.amdhsa_tg_split 0
		.amdhsa_exception_fp_ieee_invalid_op 0
		.amdhsa_exception_fp_denorm_src 0
		.amdhsa_exception_fp_ieee_div_zero 0
		.amdhsa_exception_fp_ieee_overflow 0
		.amdhsa_exception_fp_ieee_underflow 0
		.amdhsa_exception_fp_ieee_inexact 0
		.amdhsa_exception_int_div_zero 0
	.end_amdhsa_kernel
	.text
.Lfunc_end18:
	.size	batched_transpose_4x128_dword, .Lfunc_end18-batched_transpose_4x128_dword
                                        ; -- End function
	.section	.AMDGPU.csdata,"",@progbits
; Kernel info:
; codeLenInByte = 468
; NumSgprs: 32
; NumVgprs: 14
; NumAgprs: 0
; TotalNumVgprs: 14
; ScratchSize: 0
; MemoryBound: 0
; FloatMode: 240
; IeeeMode: 1
; LDSByteSize: 0 bytes/workgroup (compile time only)
; SGPRBlocks: 3
; VGPRBlocks: 1
; NumSGPRsForWavesPerEU: 32
; NumVGPRsForWavesPerEU: 14
; AccumOffset: 16
; Occupancy: 8
; WaveLimiterHint : 0
; COMPUTE_PGM_RSRC2:SCRATCH_EN: 0
; COMPUTE_PGM_RSRC2:USER_SGPR: 6
; COMPUTE_PGM_RSRC2:TRAP_HANDLER: 0
; COMPUTE_PGM_RSRC2:TGID_X_EN: 1
; COMPUTE_PGM_RSRC2:TGID_Y_EN: 0
; COMPUTE_PGM_RSRC2:TGID_Z_EN: 0
; COMPUTE_PGM_RSRC2:TIDIG_COMP_CNT: 0
; COMPUTE_PGM_RSRC3_GFX90A:ACCUM_OFFSET: 3
; COMPUTE_PGM_RSRC3_GFX90A:TG_SPLIT: 0
	.text
	.protected	batched_transpose_4x128_half ; -- Begin function batched_transpose_4x128_half
	.globl	batched_transpose_4x128_half
	.p2align	8
	.type	batched_transpose_4x128_half,@function
batched_transpose_4x128_half:           ; @batched_transpose_4x128_half
; %bb.0:
	s_load_dwordx8 s[8:15], s[4:5], 0x10
	s_waitcnt lgkmcnt(0)
	s_cmp_ge_u32 s6, s11
	s_cbranch_scc1 .LBB19_11
; %bb.1:
	s_load_dwordx4 s[16:19], s[4:5], 0x0
	s_add_i32 s0, s8, 0x7f
	s_lshr_b32 s7, s0, 7
	s_mov_b32 s1, 0
	s_lshl_b32 s0, s8, 1
	s_add_i32 s2, s9, 3
	s_lshl_b64 s[0:1], s[0:1], 1
	s_waitcnt lgkmcnt(0)
	s_add_u32 s21, s16, s0
	s_addc_u32 s22, s17, s1
	s_add_u32 s23, s18, 4
	v_lshrrev_b32_e32 v1, 7, v0
	s_addc_u32 s24, s19, 0
	s_and_b32 s0, s2, -4
	v_and_b32_e32 v6, 0x7f, v0
	s_mov_b32 s20, s9
	s_sub_i32 s25, 0, s0
	v_lshl_or_b32 v7, s6, 2, v1
	s_lshl_b32 s26, s10, 2
	v_mov_b32_e32 v8, s8
	v_mov_b32_e32 v9, s9
	;; [unrolled: 1-line block ×3, first 2 shown]
                                        ; implicit-def: $vgpr10
                                        ; implicit-def: $vgpr11
	s_branch .LBB19_3
.LBB19_2:                               ;   in Loop: Header=BB19_3 Depth=1
	s_or_b64 exec, exec, s[2:3]
	s_add_i32 s6, s6, s10
	s_cmp_lt_u32 s6, s11
	v_add_u32_e32 v7, s26, v7
	s_cbranch_scc0 .LBB19_11
.LBB19_3:                               ; =>This Inner Loop Header: Depth=1
	s_mul_hi_u32 s0, s14, s6
	s_add_i32 s0, s6, s0
	s_lshr_b32 s0, s0, s15
	s_mul_hi_u32 s1, s0, s12
	s_add_i32 s1, s0, s1
	s_lshr_b32 s27, s1, s13
	s_mul_i32 s1, s27, s7
	s_sub_i32 s1, s0, s1
	s_mul_i32 s0, s25, s0
	v_lshl_or_b32 v0, s1, 7, v6
	v_add_u32_e32 v2, s0, v7
	v_mad_u64_u32 v[4:5], s[0:1], s27, v8, v[0:1]
	v_mov_b32_e32 v3, v1
	v_mad_u64_u32 v[12:13], s[0:1], v4, s20, v[2:3]
	v_mov_b32_e32 v4, v13
	;; [unrolled: 2-line block ×3, first 2 shown]
	v_cmp_gt_u32_e32 vcc, s8, v0
	v_cmp_gt_u32_e64 s[0:1], s9, v2
	s_and_b64 s[2:3], s[0:1], vcc
	v_lshlrev_b64 v[4:5], 1, v[12:13]
	s_and_saveexec_b64 s[4:5], s[2:3]
	s_cbranch_execz .LBB19_5
; %bb.4:                                ;   in Loop: Header=BB19_3 Depth=1
	s_waitcnt vmcnt(0)
	v_mov_b32_e32 v11, s19
	v_add_co_u32_e64 v12, s[0:1], s18, v4
	v_addc_co_u32_e64 v13, s[0:1], v11, v5, s[0:1]
	global_load_ushort v11, v[12:13], off
.LBB19_5:                               ;   in Loop: Header=BB19_3 Depth=1
	s_or_b64 exec, exec, s[4:5]
	v_add_u32_e32 v12, 2, v2
	v_cmp_gt_u32_e64 s[0:1], s9, v12
	s_and_b64 s[0:1], s[0:1], vcc
	s_and_saveexec_b64 s[4:5], s[0:1]
	s_cbranch_execz .LBB19_7
; %bb.6:                                ;   in Loop: Header=BB19_3 Depth=1
	s_waitcnt vmcnt(0)
	v_mov_b32_e32 v10, s24
	v_add_co_u32_e32 v4, vcc, s23, v4
	v_addc_co_u32_e32 v5, vcc, v10, v5, vcc
	global_load_ushort v10, v[4:5], off
.LBB19_7:                               ;   in Loop: Header=BB19_3 Depth=1
	s_or_b64 exec, exec, s[4:5]
	v_mad_u64_u32 v[2:3], s[4:5], s27, v9, v[2:3]
	v_mad_u64_u32 v[4:5], s[4:5], v2, s8, v[0:1]
	v_mov_b32_e32 v0, v5
	v_mad_u64_u32 v[2:3], s[4:5], v3, s8, v[0:1]
	v_mov_b32_e32 v5, v2
	v_lshlrev_b64 v[2:3], 1, v[4:5]
	s_and_saveexec_b64 s[4:5], s[2:3]
	s_cbranch_execz .LBB19_9
; %bb.8:                                ;   in Loop: Header=BB19_3 Depth=1
	v_mov_b32_e32 v0, s17
	v_add_co_u32_e32 v4, vcc, s16, v2
	v_addc_co_u32_e32 v5, vcc, v0, v3, vcc
	s_waitcnt vmcnt(0)
	global_store_short v[4:5], v11, off
.LBB19_9:                               ;   in Loop: Header=BB19_3 Depth=1
	s_or_b64 exec, exec, s[4:5]
	s_and_saveexec_b64 s[2:3], s[0:1]
	s_cbranch_execz .LBB19_2
; %bb.10:                               ;   in Loop: Header=BB19_3 Depth=1
	v_mov_b32_e32 v0, s22
	v_add_co_u32_e32 v2, vcc, s21, v2
	v_addc_co_u32_e32 v3, vcc, v0, v3, vcc
	s_waitcnt vmcnt(0)
	global_store_short v[2:3], v10, off
	s_branch .LBB19_2
.LBB19_11:
	s_endpgm
	.section	.rodata,"a",@progbits
	.p2align	6, 0x0
	.amdhsa_kernel batched_transpose_4x128_half
		.amdhsa_group_segment_fixed_size 0
		.amdhsa_private_segment_fixed_size 0
		.amdhsa_kernarg_size 48
		.amdhsa_user_sgpr_count 6
		.amdhsa_user_sgpr_private_segment_buffer 1
		.amdhsa_user_sgpr_dispatch_ptr 0
		.amdhsa_user_sgpr_queue_ptr 0
		.amdhsa_user_sgpr_kernarg_segment_ptr 1
		.amdhsa_user_sgpr_dispatch_id 0
		.amdhsa_user_sgpr_flat_scratch_init 0
		.amdhsa_user_sgpr_kernarg_preload_length 0
		.amdhsa_user_sgpr_kernarg_preload_offset 0
		.amdhsa_user_sgpr_private_segment_size 0
		.amdhsa_uses_dynamic_stack 0
		.amdhsa_system_sgpr_private_segment_wavefront_offset 0
		.amdhsa_system_sgpr_workgroup_id_x 1
		.amdhsa_system_sgpr_workgroup_id_y 0
		.amdhsa_system_sgpr_workgroup_id_z 0
		.amdhsa_system_sgpr_workgroup_info 0
		.amdhsa_system_vgpr_workitem_id 0
		.amdhsa_next_free_vgpr 14
		.amdhsa_next_free_sgpr 28
		.amdhsa_accum_offset 16
		.amdhsa_reserve_vcc 1
		.amdhsa_reserve_flat_scratch 0
		.amdhsa_float_round_mode_32 0
		.amdhsa_float_round_mode_16_64 0
		.amdhsa_float_denorm_mode_32 3
		.amdhsa_float_denorm_mode_16_64 3
		.amdhsa_dx10_clamp 1
		.amdhsa_ieee_mode 1
		.amdhsa_fp16_overflow 0
		.amdhsa_tg_split 0
		.amdhsa_exception_fp_ieee_invalid_op 0
		.amdhsa_exception_fp_denorm_src 0
		.amdhsa_exception_fp_ieee_div_zero 0
		.amdhsa_exception_fp_ieee_overflow 0
		.amdhsa_exception_fp_ieee_underflow 0
		.amdhsa_exception_fp_ieee_inexact 0
		.amdhsa_exception_int_div_zero 0
	.end_amdhsa_kernel
	.text
.Lfunc_end19:
	.size	batched_transpose_4x128_half, .Lfunc_end19-batched_transpose_4x128_half
                                        ; -- End function
	.section	.AMDGPU.csdata,"",@progbits
; Kernel info:
; codeLenInByte = 468
; NumSgprs: 32
; NumVgprs: 14
; NumAgprs: 0
; TotalNumVgprs: 14
; ScratchSize: 0
; MemoryBound: 0
; FloatMode: 240
; IeeeMode: 1
; LDSByteSize: 0 bytes/workgroup (compile time only)
; SGPRBlocks: 3
; VGPRBlocks: 1
; NumSGPRsForWavesPerEU: 32
; NumVGPRsForWavesPerEU: 14
; AccumOffset: 16
; Occupancy: 8
; WaveLimiterHint : 0
; COMPUTE_PGM_RSRC2:SCRATCH_EN: 0
; COMPUTE_PGM_RSRC2:USER_SGPR: 6
; COMPUTE_PGM_RSRC2:TRAP_HANDLER: 0
; COMPUTE_PGM_RSRC2:TGID_X_EN: 1
; COMPUTE_PGM_RSRC2:TGID_Y_EN: 0
; COMPUTE_PGM_RSRC2:TGID_Z_EN: 0
; COMPUTE_PGM_RSRC2:TIDIG_COMP_CNT: 0
; COMPUTE_PGM_RSRC3_GFX90A:ACCUM_OFFSET: 3
; COMPUTE_PGM_RSRC3_GFX90A:TG_SPLIT: 0
	.text
	.protected	batched_transpose_4x128_byte ; -- Begin function batched_transpose_4x128_byte
	.globl	batched_transpose_4x128_byte
	.p2align	8
	.type	batched_transpose_4x128_byte,@function
batched_transpose_4x128_byte:           ; @batched_transpose_4x128_byte
; %bb.0:
	s_load_dwordx8 s[8:15], s[4:5], 0x10
	s_waitcnt lgkmcnt(0)
	s_cmp_ge_u32 s6, s11
	s_cbranch_scc1 .LBB20_11
; %bb.1:
	s_load_dwordx4 s[16:19], s[4:5], 0x0
	s_add_i32 s0, s8, 0x7f
	s_lshr_b32 s7, s0, 7
	s_add_i32 s0, s9, 3
	s_lshl_b32 s1, s8, 1
	s_waitcnt lgkmcnt(0)
	s_add_u32 s21, s16, s1
	s_addc_u32 s22, s17, 0
	s_add_u32 s23, s18, 2
	v_lshrrev_b32_e32 v1, 7, v0
	s_addc_u32 s24, s19, 0
	s_and_b32 s0, s0, -4
	v_and_b32_e32 v6, 0x7f, v0
	s_mov_b32 s20, s9
	s_sub_i32 s25, 0, s0
	v_lshl_or_b32 v7, s6, 2, v1
	s_lshl_b32 s26, s10, 2
	v_mov_b32_e32 v8, s8
	v_mov_b32_e32 v9, s9
	;; [unrolled: 1-line block ×3, first 2 shown]
                                        ; implicit-def: $vgpr10
                                        ; implicit-def: $vgpr11
	s_branch .LBB20_3
.LBB20_2:                               ;   in Loop: Header=BB20_3 Depth=1
	s_or_b64 exec, exec, s[2:3]
	s_add_i32 s6, s6, s10
	s_cmp_lt_u32 s6, s11
	v_add_u32_e32 v7, s26, v7
	s_cbranch_scc0 .LBB20_11
.LBB20_3:                               ; =>This Inner Loop Header: Depth=1
	s_mul_hi_u32 s0, s14, s6
	s_add_i32 s0, s6, s0
	s_lshr_b32 s0, s0, s15
	s_mul_hi_u32 s1, s0, s12
	s_add_i32 s1, s0, s1
	s_lshr_b32 s27, s1, s13
	s_mul_i32 s1, s27, s7
	s_sub_i32 s1, s0, s1
	s_mul_i32 s0, s25, s0
	v_lshl_or_b32 v0, s1, 7, v6
	v_add_u32_e32 v2, s0, v7
	v_mad_u64_u32 v[12:13], s[0:1], s27, v8, v[0:1]
	v_mov_b32_e32 v3, v1
	v_mad_u64_u32 v[4:5], s[0:1], v12, s20, v[2:3]
	v_mov_b32_e32 v12, v5
	v_mad_u64_u32 v[12:13], s[0:1], v13, s20, v[12:13]
	v_cmp_gt_u32_e32 vcc, s8, v0
	v_cmp_gt_u32_e64 s[0:1], s9, v2
	v_mov_b32_e32 v5, v12
	s_and_b64 s[2:3], s[0:1], vcc
	s_and_saveexec_b64 s[4:5], s[2:3]
	s_cbranch_execz .LBB20_5
; %bb.4:                                ;   in Loop: Header=BB20_3 Depth=1
	s_waitcnt vmcnt(0)
	v_mov_b32_e32 v11, s19
	v_add_co_u32_e64 v12, s[0:1], s18, v4
	v_addc_co_u32_e64 v13, s[0:1], v11, v5, s[0:1]
	global_load_ubyte v11, v[12:13], off
.LBB20_5:                               ;   in Loop: Header=BB20_3 Depth=1
	s_or_b64 exec, exec, s[4:5]
	v_add_u32_e32 v12, 2, v2
	v_cmp_gt_u32_e64 s[0:1], s9, v12
	s_and_b64 s[0:1], s[0:1], vcc
	s_and_saveexec_b64 s[4:5], s[0:1]
	s_cbranch_execz .LBB20_7
; %bb.6:                                ;   in Loop: Header=BB20_3 Depth=1
	s_waitcnt vmcnt(0)
	v_mov_b32_e32 v10, s24
	v_add_co_u32_e32 v4, vcc, s23, v4
	v_addc_co_u32_e32 v5, vcc, v10, v5, vcc
	global_load_ubyte v10, v[4:5], off
.LBB20_7:                               ;   in Loop: Header=BB20_3 Depth=1
	s_or_b64 exec, exec, s[4:5]
	v_mad_u64_u32 v[4:5], s[4:5], s27, v9, v[2:3]
	v_mad_u64_u32 v[2:3], s[4:5], v4, s8, v[0:1]
	v_mov_b32_e32 v0, v3
	v_mad_u64_u32 v[4:5], s[4:5], v5, s8, v[0:1]
	v_mov_b32_e32 v3, v4
	s_and_saveexec_b64 s[4:5], s[2:3]
	s_cbranch_execz .LBB20_9
; %bb.8:                                ;   in Loop: Header=BB20_3 Depth=1
	v_mov_b32_e32 v0, s17
	v_add_co_u32_e32 v4, vcc, s16, v2
	v_addc_co_u32_e32 v5, vcc, v0, v3, vcc
	s_waitcnt vmcnt(0)
	global_store_byte v[4:5], v11, off
.LBB20_9:                               ;   in Loop: Header=BB20_3 Depth=1
	s_or_b64 exec, exec, s[4:5]
	s_and_saveexec_b64 s[2:3], s[0:1]
	s_cbranch_execz .LBB20_2
; %bb.10:                               ;   in Loop: Header=BB20_3 Depth=1
	v_mov_b32_e32 v0, s22
	v_add_co_u32_e32 v2, vcc, s21, v2
	v_addc_co_u32_e32 v3, vcc, v0, v3, vcc
	s_waitcnt vmcnt(0)
	global_store_byte v[2:3], v10, off
	s_branch .LBB20_2
.LBB20_11:
	s_endpgm
	.section	.rodata,"a",@progbits
	.p2align	6, 0x0
	.amdhsa_kernel batched_transpose_4x128_byte
		.amdhsa_group_segment_fixed_size 0
		.amdhsa_private_segment_fixed_size 0
		.amdhsa_kernarg_size 48
		.amdhsa_user_sgpr_count 6
		.amdhsa_user_sgpr_private_segment_buffer 1
		.amdhsa_user_sgpr_dispatch_ptr 0
		.amdhsa_user_sgpr_queue_ptr 0
		.amdhsa_user_sgpr_kernarg_segment_ptr 1
		.amdhsa_user_sgpr_dispatch_id 0
		.amdhsa_user_sgpr_flat_scratch_init 0
		.amdhsa_user_sgpr_kernarg_preload_length 0
		.amdhsa_user_sgpr_kernarg_preload_offset 0
		.amdhsa_user_sgpr_private_segment_size 0
		.amdhsa_uses_dynamic_stack 0
		.amdhsa_system_sgpr_private_segment_wavefront_offset 0
		.amdhsa_system_sgpr_workgroup_id_x 1
		.amdhsa_system_sgpr_workgroup_id_y 0
		.amdhsa_system_sgpr_workgroup_id_z 0
		.amdhsa_system_sgpr_workgroup_info 0
		.amdhsa_system_vgpr_workitem_id 0
		.amdhsa_next_free_vgpr 14
		.amdhsa_next_free_sgpr 28
		.amdhsa_accum_offset 16
		.amdhsa_reserve_vcc 1
		.amdhsa_reserve_flat_scratch 0
		.amdhsa_float_round_mode_32 0
		.amdhsa_float_round_mode_16_64 0
		.amdhsa_float_denorm_mode_32 3
		.amdhsa_float_denorm_mode_16_64 3
		.amdhsa_dx10_clamp 1
		.amdhsa_ieee_mode 1
		.amdhsa_fp16_overflow 0
		.amdhsa_tg_split 0
		.amdhsa_exception_fp_ieee_invalid_op 0
		.amdhsa_exception_fp_denorm_src 0
		.amdhsa_exception_fp_ieee_div_zero 0
		.amdhsa_exception_fp_ieee_overflow 0
		.amdhsa_exception_fp_ieee_underflow 0
		.amdhsa_exception_fp_ieee_inexact 0
		.amdhsa_exception_int_div_zero 0
	.end_amdhsa_kernel
	.text
.Lfunc_end20:
	.size	batched_transpose_4x128_byte, .Lfunc_end20-batched_transpose_4x128_byte
                                        ; -- End function
	.section	.AMDGPU.csdata,"",@progbits
; Kernel info:
; codeLenInByte = 444
; NumSgprs: 32
; NumVgprs: 14
; NumAgprs: 0
; TotalNumVgprs: 14
; ScratchSize: 0
; MemoryBound: 0
; FloatMode: 240
; IeeeMode: 1
; LDSByteSize: 0 bytes/workgroup (compile time only)
; SGPRBlocks: 3
; VGPRBlocks: 1
; NumSGPRsForWavesPerEU: 32
; NumVGPRsForWavesPerEU: 14
; AccumOffset: 16
; Occupancy: 8
; WaveLimiterHint : 0
; COMPUTE_PGM_RSRC2:SCRATCH_EN: 0
; COMPUTE_PGM_RSRC2:USER_SGPR: 6
; COMPUTE_PGM_RSRC2:TRAP_HANDLER: 0
; COMPUTE_PGM_RSRC2:TGID_X_EN: 1
; COMPUTE_PGM_RSRC2:TGID_Y_EN: 0
; COMPUTE_PGM_RSRC2:TGID_Z_EN: 0
; COMPUTE_PGM_RSRC2:TIDIG_COMP_CNT: 0
; COMPUTE_PGM_RSRC3_GFX90A:ACCUM_OFFSET: 3
; COMPUTE_PGM_RSRC3_GFX90A:TG_SPLIT: 0
	.text
	.protected	batched_transpose_128x4_dword ; -- Begin function batched_transpose_128x4_dword
	.globl	batched_transpose_128x4_dword
	.p2align	8
	.type	batched_transpose_128x4_dword,@function
batched_transpose_128x4_dword:          ; @batched_transpose_128x4_dword
; %bb.0:
	s_load_dwordx8 s[8:15], s[4:5], 0x10
	s_waitcnt lgkmcnt(0)
	s_cmp_ge_u32 s6, s11
	s_cbranch_scc1 .LBB21_11
; %bb.1:
	s_load_dwordx4 s[16:19], s[4:5], 0x0
	s_add_i32 s0, s8, 3
	s_lshr_b32 s7, s0, 2
	s_mov_b32 s1, 0
	s_lshl_b32 s0, s9, 1
	s_add_i32 s2, s9, 0x7f
	s_lshl_b64 s[0:1], s[0:1], 2
	s_waitcnt lgkmcnt(0)
	s_add_u32 s21, s18, s0
	s_addc_u32 s22, s19, s1
	s_add_u32 s23, s16, 8
	v_and_b32_e32 v1, 0x7f, v0
	s_addc_u32 s24, s17, 0
	s_and_b32 s0, s2, 0xffffff80
	v_lshrrev_b32_e32 v6, 7, v0
	s_mov_b32 s20, s9
	s_sub_i32 s25, 0, s0
	v_lshl_or_b32 v7, s6, 7, v1
	s_lshl_b32 s26, s10, 7
	v_mov_b32_e32 v8, s8
	v_mov_b32_e32 v9, s9
	;; [unrolled: 1-line block ×3, first 2 shown]
                                        ; implicit-def: $vgpr10
                                        ; implicit-def: $vgpr11
	s_branch .LBB21_3
.LBB21_2:                               ;   in Loop: Header=BB21_3 Depth=1
	s_or_b64 exec, exec, s[2:3]
	s_add_i32 s6, s6, s10
	s_cmp_lt_u32 s6, s11
	v_add_u32_e32 v7, s26, v7
	s_cbranch_scc0 .LBB21_11
.LBB21_3:                               ; =>This Inner Loop Header: Depth=1
	s_mul_hi_u32 s0, s14, s6
	s_add_i32 s0, s6, s0
	s_lshr_b32 s0, s0, s15
	s_mul_hi_u32 s1, s0, s12
	s_add_i32 s1, s0, s1
	s_lshr_b32 s27, s1, s13
	s_mul_i32 s1, s27, s7
	s_sub_i32 s1, s0, s1
	s_mul_i32 s0, s25, s0
	v_lshl_or_b32 v0, s1, 2, v6
	v_add_u32_e32 v2, s0, v7
	v_mad_u64_u32 v[4:5], s[0:1], s27, v8, v[0:1]
	v_mov_b32_e32 v3, v1
	v_mad_u64_u32 v[12:13], s[0:1], v4, s20, v[2:3]
	v_mov_b32_e32 v4, v13
	v_mad_u64_u32 v[4:5], s[0:1], v5, s20, v[4:5]
	v_mov_b32_e32 v13, v4
	v_cmp_gt_u32_e64 s[0:1], s8, v0
	v_cmp_gt_u32_e32 vcc, s9, v2
	s_and_b64 s[2:3], s[0:1], vcc
	v_lshlrev_b64 v[4:5], 2, v[12:13]
	s_and_saveexec_b64 s[4:5], s[2:3]
	s_cbranch_execz .LBB21_5
; %bb.4:                                ;   in Loop: Header=BB21_3 Depth=1
	s_waitcnt vmcnt(0)
	v_mov_b32_e32 v11, s19
	v_add_co_u32_e64 v12, s[0:1], s18, v4
	v_addc_co_u32_e64 v13, s[0:1], v11, v5, s[0:1]
	global_load_dword v11, v[12:13], off
.LBB21_5:                               ;   in Loop: Header=BB21_3 Depth=1
	s_or_b64 exec, exec, s[4:5]
	v_add_u32_e32 v12, 2, v0
	v_cmp_gt_u32_e64 s[0:1], s8, v12
	s_and_b64 s[0:1], s[0:1], vcc
	s_and_saveexec_b64 s[4:5], s[0:1]
	s_cbranch_execz .LBB21_7
; %bb.6:                                ;   in Loop: Header=BB21_3 Depth=1
	s_waitcnt vmcnt(0)
	v_mov_b32_e32 v10, s22
	v_add_co_u32_e32 v4, vcc, s21, v4
	v_addc_co_u32_e32 v5, vcc, v10, v5, vcc
	global_load_dword v10, v[4:5], off
.LBB21_7:                               ;   in Loop: Header=BB21_3 Depth=1
	s_or_b64 exec, exec, s[4:5]
	v_mad_u64_u32 v[2:3], s[4:5], s27, v9, v[2:3]
	v_mad_u64_u32 v[4:5], s[4:5], v2, s8, v[0:1]
	v_mov_b32_e32 v0, v5
	v_mad_u64_u32 v[2:3], s[4:5], v3, s8, v[0:1]
	v_mov_b32_e32 v5, v2
	v_lshlrev_b64 v[2:3], 2, v[4:5]
	s_and_saveexec_b64 s[4:5], s[2:3]
	s_cbranch_execz .LBB21_9
; %bb.8:                                ;   in Loop: Header=BB21_3 Depth=1
	v_mov_b32_e32 v0, s17
	v_add_co_u32_e32 v4, vcc, s16, v2
	v_addc_co_u32_e32 v5, vcc, v0, v3, vcc
	s_waitcnt vmcnt(0)
	global_store_dword v[4:5], v11, off
.LBB21_9:                               ;   in Loop: Header=BB21_3 Depth=1
	s_or_b64 exec, exec, s[4:5]
	s_and_saveexec_b64 s[2:3], s[0:1]
	s_cbranch_execz .LBB21_2
; %bb.10:                               ;   in Loop: Header=BB21_3 Depth=1
	v_mov_b32_e32 v0, s24
	v_add_co_u32_e32 v2, vcc, s23, v2
	v_addc_co_u32_e32 v3, vcc, v0, v3, vcc
	s_waitcnt vmcnt(0)
	global_store_dword v[2:3], v10, off
	s_branch .LBB21_2
.LBB21_11:
	s_endpgm
	.section	.rodata,"a",@progbits
	.p2align	6, 0x0
	.amdhsa_kernel batched_transpose_128x4_dword
		.amdhsa_group_segment_fixed_size 0
		.amdhsa_private_segment_fixed_size 0
		.amdhsa_kernarg_size 48
		.amdhsa_user_sgpr_count 6
		.amdhsa_user_sgpr_private_segment_buffer 1
		.amdhsa_user_sgpr_dispatch_ptr 0
		.amdhsa_user_sgpr_queue_ptr 0
		.amdhsa_user_sgpr_kernarg_segment_ptr 1
		.amdhsa_user_sgpr_dispatch_id 0
		.amdhsa_user_sgpr_flat_scratch_init 0
		.amdhsa_user_sgpr_kernarg_preload_length 0
		.amdhsa_user_sgpr_kernarg_preload_offset 0
		.amdhsa_user_sgpr_private_segment_size 0
		.amdhsa_uses_dynamic_stack 0
		.amdhsa_system_sgpr_private_segment_wavefront_offset 0
		.amdhsa_system_sgpr_workgroup_id_x 1
		.amdhsa_system_sgpr_workgroup_id_y 0
		.amdhsa_system_sgpr_workgroup_id_z 0
		.amdhsa_system_sgpr_workgroup_info 0
		.amdhsa_system_vgpr_workitem_id 0
		.amdhsa_next_free_vgpr 14
		.amdhsa_next_free_sgpr 28
		.amdhsa_accum_offset 16
		.amdhsa_reserve_vcc 1
		.amdhsa_reserve_flat_scratch 0
		.amdhsa_float_round_mode_32 0
		.amdhsa_float_round_mode_16_64 0
		.amdhsa_float_denorm_mode_32 3
		.amdhsa_float_denorm_mode_16_64 3
		.amdhsa_dx10_clamp 1
		.amdhsa_ieee_mode 1
		.amdhsa_fp16_overflow 0
		.amdhsa_tg_split 0
		.amdhsa_exception_fp_ieee_invalid_op 0
		.amdhsa_exception_fp_denorm_src 0
		.amdhsa_exception_fp_ieee_div_zero 0
		.amdhsa_exception_fp_ieee_overflow 0
		.amdhsa_exception_fp_ieee_underflow 0
		.amdhsa_exception_fp_ieee_inexact 0
		.amdhsa_exception_int_div_zero 0
	.end_amdhsa_kernel
	.text
.Lfunc_end21:
	.size	batched_transpose_128x4_dword, .Lfunc_end21-batched_transpose_128x4_dword
                                        ; -- End function
	.section	.AMDGPU.csdata,"",@progbits
; Kernel info:
; codeLenInByte = 472
; NumSgprs: 32
; NumVgprs: 14
; NumAgprs: 0
; TotalNumVgprs: 14
; ScratchSize: 0
; MemoryBound: 0
; FloatMode: 240
; IeeeMode: 1
; LDSByteSize: 0 bytes/workgroup (compile time only)
; SGPRBlocks: 3
; VGPRBlocks: 1
; NumSGPRsForWavesPerEU: 32
; NumVGPRsForWavesPerEU: 14
; AccumOffset: 16
; Occupancy: 8
; WaveLimiterHint : 0
; COMPUTE_PGM_RSRC2:SCRATCH_EN: 0
; COMPUTE_PGM_RSRC2:USER_SGPR: 6
; COMPUTE_PGM_RSRC2:TRAP_HANDLER: 0
; COMPUTE_PGM_RSRC2:TGID_X_EN: 1
; COMPUTE_PGM_RSRC2:TGID_Y_EN: 0
; COMPUTE_PGM_RSRC2:TGID_Z_EN: 0
; COMPUTE_PGM_RSRC2:TIDIG_COMP_CNT: 0
; COMPUTE_PGM_RSRC3_GFX90A:ACCUM_OFFSET: 3
; COMPUTE_PGM_RSRC3_GFX90A:TG_SPLIT: 0
	.text
	.protected	batched_transpose_128x4_half ; -- Begin function batched_transpose_128x4_half
	.globl	batched_transpose_128x4_half
	.p2align	8
	.type	batched_transpose_128x4_half,@function
batched_transpose_128x4_half:           ; @batched_transpose_128x4_half
; %bb.0:
	s_load_dwordx8 s[8:15], s[4:5], 0x10
	s_waitcnt lgkmcnt(0)
	s_cmp_ge_u32 s6, s11
	s_cbranch_scc1 .LBB22_11
; %bb.1:
	s_load_dwordx4 s[16:19], s[4:5], 0x0
	s_add_i32 s0, s8, 3
	s_lshr_b32 s7, s0, 2
	s_mov_b32 s1, 0
	s_lshl_b32 s0, s9, 1
	s_add_i32 s2, s9, 0x7f
	s_lshl_b64 s[0:1], s[0:1], 1
	s_waitcnt lgkmcnt(0)
	s_add_u32 s21, s18, s0
	s_addc_u32 s22, s19, s1
	s_add_u32 s23, s16, 4
	v_and_b32_e32 v1, 0x7f, v0
	s_addc_u32 s24, s17, 0
	s_and_b32 s0, s2, 0xffffff80
	v_lshrrev_b32_e32 v6, 7, v0
	s_mov_b32 s20, s9
	s_sub_i32 s25, 0, s0
	v_lshl_or_b32 v7, s6, 7, v1
	s_lshl_b32 s26, s10, 7
	v_mov_b32_e32 v8, s8
	v_mov_b32_e32 v9, s9
	;; [unrolled: 1-line block ×3, first 2 shown]
                                        ; implicit-def: $vgpr10
                                        ; implicit-def: $vgpr11
	s_branch .LBB22_3
.LBB22_2:                               ;   in Loop: Header=BB22_3 Depth=1
	s_or_b64 exec, exec, s[2:3]
	s_add_i32 s6, s6, s10
	s_cmp_lt_u32 s6, s11
	v_add_u32_e32 v7, s26, v7
	s_cbranch_scc0 .LBB22_11
.LBB22_3:                               ; =>This Inner Loop Header: Depth=1
	s_mul_hi_u32 s0, s14, s6
	s_add_i32 s0, s6, s0
	s_lshr_b32 s0, s0, s15
	s_mul_hi_u32 s1, s0, s12
	s_add_i32 s1, s0, s1
	s_lshr_b32 s27, s1, s13
	s_mul_i32 s1, s27, s7
	s_sub_i32 s1, s0, s1
	s_mul_i32 s0, s25, s0
	v_lshl_or_b32 v0, s1, 2, v6
	v_add_u32_e32 v2, s0, v7
	v_mad_u64_u32 v[4:5], s[0:1], s27, v8, v[0:1]
	v_mov_b32_e32 v3, v1
	v_mad_u64_u32 v[12:13], s[0:1], v4, s20, v[2:3]
	v_mov_b32_e32 v4, v13
	;; [unrolled: 2-line block ×3, first 2 shown]
	v_cmp_gt_u32_e64 s[0:1], s8, v0
	v_cmp_gt_u32_e32 vcc, s9, v2
	s_and_b64 s[2:3], s[0:1], vcc
	v_lshlrev_b64 v[4:5], 1, v[12:13]
	s_and_saveexec_b64 s[4:5], s[2:3]
	s_cbranch_execz .LBB22_5
; %bb.4:                                ;   in Loop: Header=BB22_3 Depth=1
	s_waitcnt vmcnt(0)
	v_mov_b32_e32 v11, s19
	v_add_co_u32_e64 v12, s[0:1], s18, v4
	v_addc_co_u32_e64 v13, s[0:1], v11, v5, s[0:1]
	global_load_ushort v11, v[12:13], off
.LBB22_5:                               ;   in Loop: Header=BB22_3 Depth=1
	s_or_b64 exec, exec, s[4:5]
	v_add_u32_e32 v12, 2, v0
	v_cmp_gt_u32_e64 s[0:1], s8, v12
	s_and_b64 s[0:1], s[0:1], vcc
	s_and_saveexec_b64 s[4:5], s[0:1]
	s_cbranch_execz .LBB22_7
; %bb.6:                                ;   in Loop: Header=BB22_3 Depth=1
	s_waitcnt vmcnt(0)
	v_mov_b32_e32 v10, s22
	v_add_co_u32_e32 v4, vcc, s21, v4
	v_addc_co_u32_e32 v5, vcc, v10, v5, vcc
	global_load_ushort v10, v[4:5], off
.LBB22_7:                               ;   in Loop: Header=BB22_3 Depth=1
	s_or_b64 exec, exec, s[4:5]
	v_mad_u64_u32 v[2:3], s[4:5], s27, v9, v[2:3]
	v_mad_u64_u32 v[4:5], s[4:5], v2, s8, v[0:1]
	v_mov_b32_e32 v0, v5
	v_mad_u64_u32 v[2:3], s[4:5], v3, s8, v[0:1]
	v_mov_b32_e32 v5, v2
	v_lshlrev_b64 v[2:3], 1, v[4:5]
	s_and_saveexec_b64 s[4:5], s[2:3]
	s_cbranch_execz .LBB22_9
; %bb.8:                                ;   in Loop: Header=BB22_3 Depth=1
	v_mov_b32_e32 v0, s17
	v_add_co_u32_e32 v4, vcc, s16, v2
	v_addc_co_u32_e32 v5, vcc, v0, v3, vcc
	s_waitcnt vmcnt(0)
	global_store_short v[4:5], v11, off
.LBB22_9:                               ;   in Loop: Header=BB22_3 Depth=1
	s_or_b64 exec, exec, s[4:5]
	s_and_saveexec_b64 s[2:3], s[0:1]
	s_cbranch_execz .LBB22_2
; %bb.10:                               ;   in Loop: Header=BB22_3 Depth=1
	v_mov_b32_e32 v0, s24
	v_add_co_u32_e32 v2, vcc, s23, v2
	v_addc_co_u32_e32 v3, vcc, v0, v3, vcc
	s_waitcnt vmcnt(0)
	global_store_short v[2:3], v10, off
	s_branch .LBB22_2
.LBB22_11:
	s_endpgm
	.section	.rodata,"a",@progbits
	.p2align	6, 0x0
	.amdhsa_kernel batched_transpose_128x4_half
		.amdhsa_group_segment_fixed_size 0
		.amdhsa_private_segment_fixed_size 0
		.amdhsa_kernarg_size 48
		.amdhsa_user_sgpr_count 6
		.amdhsa_user_sgpr_private_segment_buffer 1
		.amdhsa_user_sgpr_dispatch_ptr 0
		.amdhsa_user_sgpr_queue_ptr 0
		.amdhsa_user_sgpr_kernarg_segment_ptr 1
		.amdhsa_user_sgpr_dispatch_id 0
		.amdhsa_user_sgpr_flat_scratch_init 0
		.amdhsa_user_sgpr_kernarg_preload_length 0
		.amdhsa_user_sgpr_kernarg_preload_offset 0
		.amdhsa_user_sgpr_private_segment_size 0
		.amdhsa_uses_dynamic_stack 0
		.amdhsa_system_sgpr_private_segment_wavefront_offset 0
		.amdhsa_system_sgpr_workgroup_id_x 1
		.amdhsa_system_sgpr_workgroup_id_y 0
		.amdhsa_system_sgpr_workgroup_id_z 0
		.amdhsa_system_sgpr_workgroup_info 0
		.amdhsa_system_vgpr_workitem_id 0
		.amdhsa_next_free_vgpr 14
		.amdhsa_next_free_sgpr 28
		.amdhsa_accum_offset 16
		.amdhsa_reserve_vcc 1
		.amdhsa_reserve_flat_scratch 0
		.amdhsa_float_round_mode_32 0
		.amdhsa_float_round_mode_16_64 0
		.amdhsa_float_denorm_mode_32 3
		.amdhsa_float_denorm_mode_16_64 3
		.amdhsa_dx10_clamp 1
		.amdhsa_ieee_mode 1
		.amdhsa_fp16_overflow 0
		.amdhsa_tg_split 0
		.amdhsa_exception_fp_ieee_invalid_op 0
		.amdhsa_exception_fp_denorm_src 0
		.amdhsa_exception_fp_ieee_div_zero 0
		.amdhsa_exception_fp_ieee_overflow 0
		.amdhsa_exception_fp_ieee_underflow 0
		.amdhsa_exception_fp_ieee_inexact 0
		.amdhsa_exception_int_div_zero 0
	.end_amdhsa_kernel
	.text
.Lfunc_end22:
	.size	batched_transpose_128x4_half, .Lfunc_end22-batched_transpose_128x4_half
                                        ; -- End function
	.section	.AMDGPU.csdata,"",@progbits
; Kernel info:
; codeLenInByte = 472
; NumSgprs: 32
; NumVgprs: 14
; NumAgprs: 0
; TotalNumVgprs: 14
; ScratchSize: 0
; MemoryBound: 0
; FloatMode: 240
; IeeeMode: 1
; LDSByteSize: 0 bytes/workgroup (compile time only)
; SGPRBlocks: 3
; VGPRBlocks: 1
; NumSGPRsForWavesPerEU: 32
; NumVGPRsForWavesPerEU: 14
; AccumOffset: 16
; Occupancy: 8
; WaveLimiterHint : 0
; COMPUTE_PGM_RSRC2:SCRATCH_EN: 0
; COMPUTE_PGM_RSRC2:USER_SGPR: 6
; COMPUTE_PGM_RSRC2:TRAP_HANDLER: 0
; COMPUTE_PGM_RSRC2:TGID_X_EN: 1
; COMPUTE_PGM_RSRC2:TGID_Y_EN: 0
; COMPUTE_PGM_RSRC2:TGID_Z_EN: 0
; COMPUTE_PGM_RSRC2:TIDIG_COMP_CNT: 0
; COMPUTE_PGM_RSRC3_GFX90A:ACCUM_OFFSET: 3
; COMPUTE_PGM_RSRC3_GFX90A:TG_SPLIT: 0
	.text
	.protected	batched_transpose_128x4_byte ; -- Begin function batched_transpose_128x4_byte
	.globl	batched_transpose_128x4_byte
	.p2align	8
	.type	batched_transpose_128x4_byte,@function
batched_transpose_128x4_byte:           ; @batched_transpose_128x4_byte
; %bb.0:
	s_load_dwordx8 s[8:15], s[4:5], 0x10
	s_waitcnt lgkmcnt(0)
	s_cmp_ge_u32 s6, s11
	s_cbranch_scc1 .LBB23_11
; %bb.1:
	s_load_dwordx4 s[16:19], s[4:5], 0x0
	s_add_i32 s0, s8, 3
	s_lshr_b32 s7, s0, 2
	s_add_i32 s0, s9, 0x7f
	s_lshl_b32 s1, s9, 1
	s_waitcnt lgkmcnt(0)
	s_add_u32 s21, s18, s1
	s_addc_u32 s22, s19, 0
	s_add_u32 s23, s16, 2
	v_and_b32_e32 v1, 0x7f, v0
	s_addc_u32 s24, s17, 0
	s_and_b32 s0, s0, 0xffffff80
	v_lshrrev_b32_e32 v6, 7, v0
	s_mov_b32 s20, s9
	s_sub_i32 s25, 0, s0
	v_lshl_or_b32 v7, s6, 7, v1
	s_lshl_b32 s26, s10, 7
	v_mov_b32_e32 v8, s8
	v_mov_b32_e32 v9, s9
	;; [unrolled: 1-line block ×3, first 2 shown]
                                        ; implicit-def: $vgpr10
                                        ; implicit-def: $vgpr11
	s_branch .LBB23_3
.LBB23_2:                               ;   in Loop: Header=BB23_3 Depth=1
	s_or_b64 exec, exec, s[2:3]
	s_add_i32 s6, s6, s10
	s_cmp_lt_u32 s6, s11
	v_add_u32_e32 v7, s26, v7
	s_cbranch_scc0 .LBB23_11
.LBB23_3:                               ; =>This Inner Loop Header: Depth=1
	s_mul_hi_u32 s0, s14, s6
	s_add_i32 s0, s6, s0
	s_lshr_b32 s0, s0, s15
	s_mul_hi_u32 s1, s0, s12
	s_add_i32 s1, s0, s1
	s_lshr_b32 s27, s1, s13
	s_mul_i32 s1, s27, s7
	s_sub_i32 s1, s0, s1
	s_mul_i32 s0, s25, s0
	v_lshl_or_b32 v0, s1, 2, v6
	v_add_u32_e32 v2, s0, v7
	v_mad_u64_u32 v[12:13], s[0:1], s27, v8, v[0:1]
	v_mov_b32_e32 v3, v1
	v_mad_u64_u32 v[4:5], s[0:1], v12, s20, v[2:3]
	v_mov_b32_e32 v12, v5
	v_mad_u64_u32 v[12:13], s[0:1], v13, s20, v[12:13]
	v_cmp_gt_u32_e64 s[0:1], s8, v0
	v_cmp_gt_u32_e32 vcc, s9, v2
	v_mov_b32_e32 v5, v12
	s_and_b64 s[2:3], s[0:1], vcc
	s_and_saveexec_b64 s[4:5], s[2:3]
	s_cbranch_execz .LBB23_5
; %bb.4:                                ;   in Loop: Header=BB23_3 Depth=1
	s_waitcnt vmcnt(0)
	v_mov_b32_e32 v11, s19
	v_add_co_u32_e64 v12, s[0:1], s18, v4
	v_addc_co_u32_e64 v13, s[0:1], v11, v5, s[0:1]
	global_load_ubyte v11, v[12:13], off
.LBB23_5:                               ;   in Loop: Header=BB23_3 Depth=1
	s_or_b64 exec, exec, s[4:5]
	v_add_u32_e32 v12, 2, v0
	v_cmp_gt_u32_e64 s[0:1], s8, v12
	s_and_b64 s[0:1], s[0:1], vcc
	s_and_saveexec_b64 s[4:5], s[0:1]
	s_cbranch_execz .LBB23_7
; %bb.6:                                ;   in Loop: Header=BB23_3 Depth=1
	s_waitcnt vmcnt(0)
	v_mov_b32_e32 v10, s22
	v_add_co_u32_e32 v4, vcc, s21, v4
	v_addc_co_u32_e32 v5, vcc, v10, v5, vcc
	global_load_ubyte v10, v[4:5], off
.LBB23_7:                               ;   in Loop: Header=BB23_3 Depth=1
	s_or_b64 exec, exec, s[4:5]
	v_mad_u64_u32 v[4:5], s[4:5], s27, v9, v[2:3]
	v_mad_u64_u32 v[2:3], s[4:5], v4, s8, v[0:1]
	v_mov_b32_e32 v0, v3
	v_mad_u64_u32 v[4:5], s[4:5], v5, s8, v[0:1]
	v_mov_b32_e32 v3, v4
	s_and_saveexec_b64 s[4:5], s[2:3]
	s_cbranch_execz .LBB23_9
; %bb.8:                                ;   in Loop: Header=BB23_3 Depth=1
	v_mov_b32_e32 v0, s17
	v_add_co_u32_e32 v4, vcc, s16, v2
	v_addc_co_u32_e32 v5, vcc, v0, v3, vcc
	s_waitcnt vmcnt(0)
	global_store_byte v[4:5], v11, off
.LBB23_9:                               ;   in Loop: Header=BB23_3 Depth=1
	s_or_b64 exec, exec, s[4:5]
	s_and_saveexec_b64 s[2:3], s[0:1]
	s_cbranch_execz .LBB23_2
; %bb.10:                               ;   in Loop: Header=BB23_3 Depth=1
	v_mov_b32_e32 v0, s24
	v_add_co_u32_e32 v2, vcc, s23, v2
	v_addc_co_u32_e32 v3, vcc, v0, v3, vcc
	s_waitcnt vmcnt(0)
	global_store_byte v[2:3], v10, off
	s_branch .LBB23_2
.LBB23_11:
	s_endpgm
	.section	.rodata,"a",@progbits
	.p2align	6, 0x0
	.amdhsa_kernel batched_transpose_128x4_byte
		.amdhsa_group_segment_fixed_size 0
		.amdhsa_private_segment_fixed_size 0
		.amdhsa_kernarg_size 48
		.amdhsa_user_sgpr_count 6
		.amdhsa_user_sgpr_private_segment_buffer 1
		.amdhsa_user_sgpr_dispatch_ptr 0
		.amdhsa_user_sgpr_queue_ptr 0
		.amdhsa_user_sgpr_kernarg_segment_ptr 1
		.amdhsa_user_sgpr_dispatch_id 0
		.amdhsa_user_sgpr_flat_scratch_init 0
		.amdhsa_user_sgpr_kernarg_preload_length 0
		.amdhsa_user_sgpr_kernarg_preload_offset 0
		.amdhsa_user_sgpr_private_segment_size 0
		.amdhsa_uses_dynamic_stack 0
		.amdhsa_system_sgpr_private_segment_wavefront_offset 0
		.amdhsa_system_sgpr_workgroup_id_x 1
		.amdhsa_system_sgpr_workgroup_id_y 0
		.amdhsa_system_sgpr_workgroup_id_z 0
		.amdhsa_system_sgpr_workgroup_info 0
		.amdhsa_system_vgpr_workitem_id 0
		.amdhsa_next_free_vgpr 14
		.amdhsa_next_free_sgpr 28
		.amdhsa_accum_offset 16
		.amdhsa_reserve_vcc 1
		.amdhsa_reserve_flat_scratch 0
		.amdhsa_float_round_mode_32 0
		.amdhsa_float_round_mode_16_64 0
		.amdhsa_float_denorm_mode_32 3
		.amdhsa_float_denorm_mode_16_64 3
		.amdhsa_dx10_clamp 1
		.amdhsa_ieee_mode 1
		.amdhsa_fp16_overflow 0
		.amdhsa_tg_split 0
		.amdhsa_exception_fp_ieee_invalid_op 0
		.amdhsa_exception_fp_denorm_src 0
		.amdhsa_exception_fp_ieee_div_zero 0
		.amdhsa_exception_fp_ieee_overflow 0
		.amdhsa_exception_fp_ieee_underflow 0
		.amdhsa_exception_fp_ieee_inexact 0
		.amdhsa_exception_int_div_zero 0
	.end_amdhsa_kernel
	.text
.Lfunc_end23:
	.size	batched_transpose_128x4_byte, .Lfunc_end23-batched_transpose_128x4_byte
                                        ; -- End function
	.section	.AMDGPU.csdata,"",@progbits
; Kernel info:
; codeLenInByte = 448
; NumSgprs: 32
; NumVgprs: 14
; NumAgprs: 0
; TotalNumVgprs: 14
; ScratchSize: 0
; MemoryBound: 0
; FloatMode: 240
; IeeeMode: 1
; LDSByteSize: 0 bytes/workgroup (compile time only)
; SGPRBlocks: 3
; VGPRBlocks: 1
; NumSGPRsForWavesPerEU: 32
; NumVGPRsForWavesPerEU: 14
; AccumOffset: 16
; Occupancy: 8
; WaveLimiterHint : 0
; COMPUTE_PGM_RSRC2:SCRATCH_EN: 0
; COMPUTE_PGM_RSRC2:USER_SGPR: 6
; COMPUTE_PGM_RSRC2:TRAP_HANDLER: 0
; COMPUTE_PGM_RSRC2:TGID_X_EN: 1
; COMPUTE_PGM_RSRC2:TGID_Y_EN: 0
; COMPUTE_PGM_RSRC2:TGID_Z_EN: 0
; COMPUTE_PGM_RSRC2:TIDIG_COMP_CNT: 0
; COMPUTE_PGM_RSRC3_GFX90A:ACCUM_OFFSET: 3
; COMPUTE_PGM_RSRC3_GFX90A:TG_SPLIT: 0
	.text
	.protected	batched_transpose_4x64_dword ; -- Begin function batched_transpose_4x64_dword
	.globl	batched_transpose_4x64_dword
	.p2align	8
	.type	batched_transpose_4x64_dword,@function
batched_transpose_4x64_dword:           ; @batched_transpose_4x64_dword
; %bb.0:
	s_load_dwordx8 s[8:15], s[4:5], 0x10
	s_waitcnt lgkmcnt(0)
	s_cmp_ge_u32 s6, s11
	s_cbranch_scc1 .LBB24_7
; %bb.1:
	s_load_dwordx4 s[16:19], s[4:5], 0x0
	s_add_i32 s0, s8, 63
	s_lshr_b32 s4, s0, 6
	s_add_i32 s0, s9, 3
	v_lshrrev_b32_e32 v1, 6, v0
	s_and_b32 s0, s0, -4
	v_and_b32_e32 v4, 63, v0
	s_mov_b32 s5, s9
	s_sub_i32 s7, 0, s0
	v_lshl_or_b32 v5, s6, 2, v1
	s_lshl_b32 s20, s10, 2
	v_mov_b32_e32 v1, 0
                                        ; implicit-def: $vgpr6
	s_branch .LBB24_3
.LBB24_2:                               ;   in Loop: Header=BB24_3 Depth=1
	s_or_b64 exec, exec, s[2:3]
	s_add_i32 s6, s6, s10
	s_cmp_lt_u32 s6, s11
	v_add_u32_e32 v5, s20, v5
	s_cbranch_scc0 .LBB24_7
.LBB24_3:                               ; =>This Inner Loop Header: Depth=1
	s_mul_hi_u32 s0, s14, s6
	s_add_i32 s0, s6, s0
	s_lshr_b32 s0, s0, s15
	s_mul_hi_u32 s1, s0, s12
	s_add_i32 s1, s0, s1
	s_lshr_b32 s21, s1, s13
	s_mul_i32 s1, s21, s4
	s_sub_i32 s1, s0, s1
	s_mul_i32 s0, s7, s0
	v_add_u32_e32 v2, s0, v5
	v_lshl_or_b32 v0, s1, 6, v4
	v_cmp_gt_u32_e32 vcc, s8, v0
	v_cmp_gt_u32_e64 s[0:1], s9, v2
	v_mov_b32_e32 v3, v1
	s_and_b64 s[0:1], s[0:1], vcc
	s_and_saveexec_b64 s[2:3], s[0:1]
	s_cbranch_execz .LBB24_5
; %bb.4:                                ;   in Loop: Header=BB24_3 Depth=1
	s_waitcnt vmcnt(0)
	v_mov_b32_e32 v6, s8
	v_mad_u64_u32 v[6:7], s[22:23], s21, v6, v[0:1]
	v_mad_u64_u32 v[8:9], s[22:23], v6, s5, 0
	v_mov_b32_e32 v6, v9
	v_mad_u64_u32 v[6:7], s[22:23], v7, s5, v[6:7]
	v_mov_b32_e32 v9, v6
	v_lshlrev_b64 v[6:7], 2, v[8:9]
	s_waitcnt lgkmcnt(0)
	v_mov_b32_e32 v8, s19
	v_add_co_u32_e32 v9, vcc, s18, v6
	v_addc_co_u32_e32 v8, vcc, v8, v7, vcc
	v_lshlrev_b64 v[6:7], 2, v[2:3]
	v_add_co_u32_e32 v6, vcc, v9, v6
	v_addc_co_u32_e32 v7, vcc, v8, v7, vcc
	global_load_dword v6, v[6:7], off
.LBB24_5:                               ;   in Loop: Header=BB24_3 Depth=1
	s_or_b64 exec, exec, s[2:3]
	s_and_saveexec_b64 s[2:3], s[0:1]
	s_cbranch_execz .LBB24_2
; %bb.6:                                ;   in Loop: Header=BB24_3 Depth=1
	v_mov_b32_e32 v7, s5
	v_mad_u64_u32 v[2:3], s[0:1], s21, v7, v[2:3]
	v_mad_u64_u32 v[8:9], s[0:1], v2, s8, 0
	v_mov_b32_e32 v2, v9
	v_mad_u64_u32 v[2:3], s[0:1], v3, s8, v[2:3]
	v_mov_b32_e32 v9, v2
	v_lshlrev_b64 v[2:3], 2, v[8:9]
	s_waitcnt lgkmcnt(0)
	v_mov_b32_e32 v7, s17
	v_add_co_u32_e32 v8, vcc, s16, v2
	v_addc_co_u32_e32 v7, vcc, v7, v3, vcc
	v_lshlrev_b64 v[2:3], 2, v[0:1]
	v_add_co_u32_e32 v2, vcc, v8, v2
	v_addc_co_u32_e32 v3, vcc, v7, v3, vcc
	s_waitcnt vmcnt(0)
	global_store_dword v[2:3], v6, off
	s_branch .LBB24_2
.LBB24_7:
	s_endpgm
	.section	.rodata,"a",@progbits
	.p2align	6, 0x0
	.amdhsa_kernel batched_transpose_4x64_dword
		.amdhsa_group_segment_fixed_size 0
		.amdhsa_private_segment_fixed_size 0
		.amdhsa_kernarg_size 48
		.amdhsa_user_sgpr_count 6
		.amdhsa_user_sgpr_private_segment_buffer 1
		.amdhsa_user_sgpr_dispatch_ptr 0
		.amdhsa_user_sgpr_queue_ptr 0
		.amdhsa_user_sgpr_kernarg_segment_ptr 1
		.amdhsa_user_sgpr_dispatch_id 0
		.amdhsa_user_sgpr_flat_scratch_init 0
		.amdhsa_user_sgpr_kernarg_preload_length 0
		.amdhsa_user_sgpr_kernarg_preload_offset 0
		.amdhsa_user_sgpr_private_segment_size 0
		.amdhsa_uses_dynamic_stack 0
		.amdhsa_system_sgpr_private_segment_wavefront_offset 0
		.amdhsa_system_sgpr_workgroup_id_x 1
		.amdhsa_system_sgpr_workgroup_id_y 0
		.amdhsa_system_sgpr_workgroup_id_z 0
		.amdhsa_system_sgpr_workgroup_info 0
		.amdhsa_system_vgpr_workitem_id 0
		.amdhsa_next_free_vgpr 10
		.amdhsa_next_free_sgpr 24
		.amdhsa_accum_offset 12
		.amdhsa_reserve_vcc 1
		.amdhsa_reserve_flat_scratch 0
		.amdhsa_float_round_mode_32 0
		.amdhsa_float_round_mode_16_64 0
		.amdhsa_float_denorm_mode_32 3
		.amdhsa_float_denorm_mode_16_64 3
		.amdhsa_dx10_clamp 1
		.amdhsa_ieee_mode 1
		.amdhsa_fp16_overflow 0
		.amdhsa_tg_split 0
		.amdhsa_exception_fp_ieee_invalid_op 0
		.amdhsa_exception_fp_denorm_src 0
		.amdhsa_exception_fp_ieee_div_zero 0
		.amdhsa_exception_fp_ieee_overflow 0
		.amdhsa_exception_fp_ieee_underflow 0
		.amdhsa_exception_fp_ieee_inexact 0
		.amdhsa_exception_int_div_zero 0
	.end_amdhsa_kernel
	.text
.Lfunc_end24:
	.size	batched_transpose_4x64_dword, .Lfunc_end24-batched_transpose_4x64_dword
                                        ; -- End function
	.section	.AMDGPU.csdata,"",@progbits
; Kernel info:
; codeLenInByte = 372
; NumSgprs: 28
; NumVgprs: 10
; NumAgprs: 0
; TotalNumVgprs: 10
; ScratchSize: 0
; MemoryBound: 0
; FloatMode: 240
; IeeeMode: 1
; LDSByteSize: 0 bytes/workgroup (compile time only)
; SGPRBlocks: 3
; VGPRBlocks: 1
; NumSGPRsForWavesPerEU: 28
; NumVGPRsForWavesPerEU: 10
; AccumOffset: 12
; Occupancy: 8
; WaveLimiterHint : 0
; COMPUTE_PGM_RSRC2:SCRATCH_EN: 0
; COMPUTE_PGM_RSRC2:USER_SGPR: 6
; COMPUTE_PGM_RSRC2:TRAP_HANDLER: 0
; COMPUTE_PGM_RSRC2:TGID_X_EN: 1
; COMPUTE_PGM_RSRC2:TGID_Y_EN: 0
; COMPUTE_PGM_RSRC2:TGID_Z_EN: 0
; COMPUTE_PGM_RSRC2:TIDIG_COMP_CNT: 0
; COMPUTE_PGM_RSRC3_GFX90A:ACCUM_OFFSET: 2
; COMPUTE_PGM_RSRC3_GFX90A:TG_SPLIT: 0
	.text
	.protected	batched_transpose_4x64_half ; -- Begin function batched_transpose_4x64_half
	.globl	batched_transpose_4x64_half
	.p2align	8
	.type	batched_transpose_4x64_half,@function
batched_transpose_4x64_half:            ; @batched_transpose_4x64_half
; %bb.0:
	s_load_dwordx8 s[8:15], s[4:5], 0x10
	s_waitcnt lgkmcnt(0)
	s_cmp_ge_u32 s6, s11
	s_cbranch_scc1 .LBB25_7
; %bb.1:
	s_load_dwordx4 s[16:19], s[4:5], 0x0
	s_add_i32 s0, s8, 63
	s_lshr_b32 s4, s0, 6
	s_add_i32 s0, s9, 3
	v_lshrrev_b32_e32 v1, 6, v0
	s_and_b32 s0, s0, -4
	v_and_b32_e32 v4, 63, v0
	s_mov_b32 s5, s9
	s_sub_i32 s7, 0, s0
	v_lshl_or_b32 v5, s6, 2, v1
	s_lshl_b32 s20, s10, 2
	v_mov_b32_e32 v1, 0
                                        ; implicit-def: $vgpr6
	s_branch .LBB25_3
.LBB25_2:                               ;   in Loop: Header=BB25_3 Depth=1
	s_or_b64 exec, exec, s[2:3]
	s_add_i32 s6, s6, s10
	s_cmp_lt_u32 s6, s11
	v_add_u32_e32 v5, s20, v5
	s_cbranch_scc0 .LBB25_7
.LBB25_3:                               ; =>This Inner Loop Header: Depth=1
	s_mul_hi_u32 s0, s14, s6
	s_add_i32 s0, s6, s0
	s_lshr_b32 s0, s0, s15
	s_mul_hi_u32 s1, s0, s12
	s_add_i32 s1, s0, s1
	s_lshr_b32 s21, s1, s13
	s_mul_i32 s1, s21, s4
	s_sub_i32 s1, s0, s1
	s_mul_i32 s0, s7, s0
	v_add_u32_e32 v2, s0, v5
	v_lshl_or_b32 v0, s1, 6, v4
	v_cmp_gt_u32_e32 vcc, s8, v0
	v_cmp_gt_u32_e64 s[0:1], s9, v2
	v_mov_b32_e32 v3, v1
	s_and_b64 s[0:1], s[0:1], vcc
	s_and_saveexec_b64 s[2:3], s[0:1]
	s_cbranch_execz .LBB25_5
; %bb.4:                                ;   in Loop: Header=BB25_3 Depth=1
	s_waitcnt vmcnt(0)
	v_mov_b32_e32 v6, s8
	v_mad_u64_u32 v[6:7], s[22:23], s21, v6, v[0:1]
	v_mad_u64_u32 v[8:9], s[22:23], v6, s5, 0
	v_mov_b32_e32 v6, v9
	v_mad_u64_u32 v[6:7], s[22:23], v7, s5, v[6:7]
	v_mov_b32_e32 v9, v6
	v_lshlrev_b64 v[6:7], 1, v[8:9]
	s_waitcnt lgkmcnt(0)
	v_mov_b32_e32 v8, s19
	v_add_co_u32_e32 v9, vcc, s18, v6
	v_addc_co_u32_e32 v8, vcc, v8, v7, vcc
	v_lshlrev_b64 v[6:7], 1, v[2:3]
	v_add_co_u32_e32 v6, vcc, v9, v6
	v_addc_co_u32_e32 v7, vcc, v8, v7, vcc
	global_load_ushort v6, v[6:7], off
.LBB25_5:                               ;   in Loop: Header=BB25_3 Depth=1
	s_or_b64 exec, exec, s[2:3]
	s_and_saveexec_b64 s[2:3], s[0:1]
	s_cbranch_execz .LBB25_2
; %bb.6:                                ;   in Loop: Header=BB25_3 Depth=1
	v_mov_b32_e32 v7, s5
	v_mad_u64_u32 v[2:3], s[0:1], s21, v7, v[2:3]
	v_mad_u64_u32 v[8:9], s[0:1], v2, s8, 0
	v_mov_b32_e32 v2, v9
	v_mad_u64_u32 v[2:3], s[0:1], v3, s8, v[2:3]
	v_mov_b32_e32 v9, v2
	v_lshlrev_b64 v[2:3], 1, v[8:9]
	s_waitcnt lgkmcnt(0)
	v_mov_b32_e32 v7, s17
	v_add_co_u32_e32 v8, vcc, s16, v2
	v_addc_co_u32_e32 v7, vcc, v7, v3, vcc
	v_lshlrev_b64 v[2:3], 1, v[0:1]
	v_add_co_u32_e32 v2, vcc, v8, v2
	v_addc_co_u32_e32 v3, vcc, v7, v3, vcc
	s_waitcnt vmcnt(0)
	global_store_short v[2:3], v6, off
	s_branch .LBB25_2
.LBB25_7:
	s_endpgm
	.section	.rodata,"a",@progbits
	.p2align	6, 0x0
	.amdhsa_kernel batched_transpose_4x64_half
		.amdhsa_group_segment_fixed_size 0
		.amdhsa_private_segment_fixed_size 0
		.amdhsa_kernarg_size 48
		.amdhsa_user_sgpr_count 6
		.amdhsa_user_sgpr_private_segment_buffer 1
		.amdhsa_user_sgpr_dispatch_ptr 0
		.amdhsa_user_sgpr_queue_ptr 0
		.amdhsa_user_sgpr_kernarg_segment_ptr 1
		.amdhsa_user_sgpr_dispatch_id 0
		.amdhsa_user_sgpr_flat_scratch_init 0
		.amdhsa_user_sgpr_kernarg_preload_length 0
		.amdhsa_user_sgpr_kernarg_preload_offset 0
		.amdhsa_user_sgpr_private_segment_size 0
		.amdhsa_uses_dynamic_stack 0
		.amdhsa_system_sgpr_private_segment_wavefront_offset 0
		.amdhsa_system_sgpr_workgroup_id_x 1
		.amdhsa_system_sgpr_workgroup_id_y 0
		.amdhsa_system_sgpr_workgroup_id_z 0
		.amdhsa_system_sgpr_workgroup_info 0
		.amdhsa_system_vgpr_workitem_id 0
		.amdhsa_next_free_vgpr 10
		.amdhsa_next_free_sgpr 24
		.amdhsa_accum_offset 12
		.amdhsa_reserve_vcc 1
		.amdhsa_reserve_flat_scratch 0
		.amdhsa_float_round_mode_32 0
		.amdhsa_float_round_mode_16_64 0
		.amdhsa_float_denorm_mode_32 3
		.amdhsa_float_denorm_mode_16_64 3
		.amdhsa_dx10_clamp 1
		.amdhsa_ieee_mode 1
		.amdhsa_fp16_overflow 0
		.amdhsa_tg_split 0
		.amdhsa_exception_fp_ieee_invalid_op 0
		.amdhsa_exception_fp_denorm_src 0
		.amdhsa_exception_fp_ieee_div_zero 0
		.amdhsa_exception_fp_ieee_overflow 0
		.amdhsa_exception_fp_ieee_underflow 0
		.amdhsa_exception_fp_ieee_inexact 0
		.amdhsa_exception_int_div_zero 0
	.end_amdhsa_kernel
	.text
.Lfunc_end25:
	.size	batched_transpose_4x64_half, .Lfunc_end25-batched_transpose_4x64_half
                                        ; -- End function
	.section	.AMDGPU.csdata,"",@progbits
; Kernel info:
; codeLenInByte = 372
; NumSgprs: 28
; NumVgprs: 10
; NumAgprs: 0
; TotalNumVgprs: 10
; ScratchSize: 0
; MemoryBound: 0
; FloatMode: 240
; IeeeMode: 1
; LDSByteSize: 0 bytes/workgroup (compile time only)
; SGPRBlocks: 3
; VGPRBlocks: 1
; NumSGPRsForWavesPerEU: 28
; NumVGPRsForWavesPerEU: 10
; AccumOffset: 12
; Occupancy: 8
; WaveLimiterHint : 0
; COMPUTE_PGM_RSRC2:SCRATCH_EN: 0
; COMPUTE_PGM_RSRC2:USER_SGPR: 6
; COMPUTE_PGM_RSRC2:TRAP_HANDLER: 0
; COMPUTE_PGM_RSRC2:TGID_X_EN: 1
; COMPUTE_PGM_RSRC2:TGID_Y_EN: 0
; COMPUTE_PGM_RSRC2:TGID_Z_EN: 0
; COMPUTE_PGM_RSRC2:TIDIG_COMP_CNT: 0
; COMPUTE_PGM_RSRC3_GFX90A:ACCUM_OFFSET: 2
; COMPUTE_PGM_RSRC3_GFX90A:TG_SPLIT: 0
	.text
	.protected	batched_transpose_4x64_byte ; -- Begin function batched_transpose_4x64_byte
	.globl	batched_transpose_4x64_byte
	.p2align	8
	.type	batched_transpose_4x64_byte,@function
batched_transpose_4x64_byte:            ; @batched_transpose_4x64_byte
; %bb.0:
	s_load_dwordx8 s[8:15], s[4:5], 0x10
	s_waitcnt lgkmcnt(0)
	s_cmp_ge_u32 s6, s11
	s_cbranch_scc1 .LBB26_7
; %bb.1:
	s_load_dwordx4 s[16:19], s[4:5], 0x0
	s_add_i32 s0, s8, 63
	s_lshr_b32 s4, s0, 6
	s_add_i32 s0, s9, 3
	v_lshrrev_b32_e32 v1, 6, v0
	s_and_b32 s0, s0, -4
	v_and_b32_e32 v4, 63, v0
	s_mov_b32 s5, s9
	s_sub_i32 s7, 0, s0
	v_lshl_or_b32 v5, s6, 2, v1
	s_lshl_b32 s20, s10, 2
	v_mov_b32_e32 v1, 0
                                        ; implicit-def: $vgpr6
	s_branch .LBB26_3
.LBB26_2:                               ;   in Loop: Header=BB26_3 Depth=1
	s_or_b64 exec, exec, s[2:3]
	s_add_i32 s6, s6, s10
	s_cmp_lt_u32 s6, s11
	v_add_u32_e32 v5, s20, v5
	s_cbranch_scc0 .LBB26_7
.LBB26_3:                               ; =>This Inner Loop Header: Depth=1
	s_mul_hi_u32 s0, s14, s6
	s_add_i32 s0, s6, s0
	s_lshr_b32 s0, s0, s15
	s_mul_hi_u32 s1, s0, s12
	s_add_i32 s1, s0, s1
	s_lshr_b32 s21, s1, s13
	s_mul_i32 s1, s21, s4
	s_sub_i32 s1, s0, s1
	s_mul_i32 s0, s7, s0
	v_add_u32_e32 v2, s0, v5
	v_lshl_or_b32 v0, s1, 6, v4
	v_cmp_gt_u32_e32 vcc, s8, v0
	v_cmp_gt_u32_e64 s[0:1], s9, v2
	v_mov_b32_e32 v3, v1
	s_and_b64 s[0:1], s[0:1], vcc
	s_and_saveexec_b64 s[2:3], s[0:1]
	s_cbranch_execz .LBB26_5
; %bb.4:                                ;   in Loop: Header=BB26_3 Depth=1
	s_waitcnt vmcnt(0)
	v_mov_b32_e32 v6, s8
	v_mad_u64_u32 v[6:7], s[22:23], s21, v6, v[0:1]
	s_waitcnt lgkmcnt(0)
	v_pk_mov_b32 v[8:9], s[18:19], s[18:19] op_sel:[0,1]
	v_mad_u64_u32 v[8:9], s[22:23], v6, s5, v[8:9]
	v_mov_b32_e32 v6, v9
	v_mad_u64_u32 v[6:7], s[22:23], v7, s5, v[6:7]
	v_mov_b32_e32 v7, v6
	v_add_co_u32_e32 v6, vcc, v8, v2
	v_addc_co_u32_e32 v7, vcc, 0, v7, vcc
	global_load_ubyte v6, v[6:7], off
.LBB26_5:                               ;   in Loop: Header=BB26_3 Depth=1
	s_or_b64 exec, exec, s[2:3]
	s_and_saveexec_b64 s[2:3], s[0:1]
	s_cbranch_execz .LBB26_2
; %bb.6:                                ;   in Loop: Header=BB26_3 Depth=1
	v_mov_b32_e32 v7, s5
	v_mad_u64_u32 v[2:3], s[0:1], s21, v7, v[2:3]
	s_waitcnt lgkmcnt(0)
	v_pk_mov_b32 v[8:9], s[16:17], s[16:17] op_sel:[0,1]
	v_mad_u64_u32 v[8:9], s[0:1], v2, s8, v[8:9]
	v_mov_b32_e32 v2, v9
	v_mad_u64_u32 v[2:3], s[0:1], v3, s8, v[2:3]
	v_mov_b32_e32 v3, v2
	v_add_co_u32_e32 v2, vcc, v8, v0
	v_addc_co_u32_e32 v3, vcc, 0, v3, vcc
	s_waitcnt vmcnt(0)
	global_store_byte v[2:3], v6, off
	s_branch .LBB26_2
.LBB26_7:
	s_endpgm
	.section	.rodata,"a",@progbits
	.p2align	6, 0x0
	.amdhsa_kernel batched_transpose_4x64_byte
		.amdhsa_group_segment_fixed_size 0
		.amdhsa_private_segment_fixed_size 0
		.amdhsa_kernarg_size 48
		.amdhsa_user_sgpr_count 6
		.amdhsa_user_sgpr_private_segment_buffer 1
		.amdhsa_user_sgpr_dispatch_ptr 0
		.amdhsa_user_sgpr_queue_ptr 0
		.amdhsa_user_sgpr_kernarg_segment_ptr 1
		.amdhsa_user_sgpr_dispatch_id 0
		.amdhsa_user_sgpr_flat_scratch_init 0
		.amdhsa_user_sgpr_kernarg_preload_length 0
		.amdhsa_user_sgpr_kernarg_preload_offset 0
		.amdhsa_user_sgpr_private_segment_size 0
		.amdhsa_uses_dynamic_stack 0
		.amdhsa_system_sgpr_private_segment_wavefront_offset 0
		.amdhsa_system_sgpr_workgroup_id_x 1
		.amdhsa_system_sgpr_workgroup_id_y 0
		.amdhsa_system_sgpr_workgroup_id_z 0
		.amdhsa_system_sgpr_workgroup_info 0
		.amdhsa_system_vgpr_workitem_id 0
		.amdhsa_next_free_vgpr 10
		.amdhsa_next_free_sgpr 24
		.amdhsa_accum_offset 12
		.amdhsa_reserve_vcc 1
		.amdhsa_reserve_flat_scratch 0
		.amdhsa_float_round_mode_32 0
		.amdhsa_float_round_mode_16_64 0
		.amdhsa_float_denorm_mode_32 3
		.amdhsa_float_denorm_mode_16_64 3
		.amdhsa_dx10_clamp 1
		.amdhsa_ieee_mode 1
		.amdhsa_fp16_overflow 0
		.amdhsa_tg_split 0
		.amdhsa_exception_fp_ieee_invalid_op 0
		.amdhsa_exception_fp_denorm_src 0
		.amdhsa_exception_fp_ieee_div_zero 0
		.amdhsa_exception_fp_ieee_overflow 0
		.amdhsa_exception_fp_ieee_underflow 0
		.amdhsa_exception_fp_ieee_inexact 0
		.amdhsa_exception_int_div_zero 0
	.end_amdhsa_kernel
	.text
.Lfunc_end26:
	.size	batched_transpose_4x64_byte, .Lfunc_end26-batched_transpose_4x64_byte
                                        ; -- End function
	.section	.AMDGPU.csdata,"",@progbits
; Kernel info:
; codeLenInByte = 332
; NumSgprs: 28
; NumVgprs: 10
; NumAgprs: 0
; TotalNumVgprs: 10
; ScratchSize: 0
; MemoryBound: 0
; FloatMode: 240
; IeeeMode: 1
; LDSByteSize: 0 bytes/workgroup (compile time only)
; SGPRBlocks: 3
; VGPRBlocks: 1
; NumSGPRsForWavesPerEU: 28
; NumVGPRsForWavesPerEU: 10
; AccumOffset: 12
; Occupancy: 8
; WaveLimiterHint : 0
; COMPUTE_PGM_RSRC2:SCRATCH_EN: 0
; COMPUTE_PGM_RSRC2:USER_SGPR: 6
; COMPUTE_PGM_RSRC2:TRAP_HANDLER: 0
; COMPUTE_PGM_RSRC2:TGID_X_EN: 1
; COMPUTE_PGM_RSRC2:TGID_Y_EN: 0
; COMPUTE_PGM_RSRC2:TGID_Z_EN: 0
; COMPUTE_PGM_RSRC2:TIDIG_COMP_CNT: 0
; COMPUTE_PGM_RSRC3_GFX90A:ACCUM_OFFSET: 2
; COMPUTE_PGM_RSRC3_GFX90A:TG_SPLIT: 0
	.text
	.protected	batched_transpose_64x4_dword ; -- Begin function batched_transpose_64x4_dword
	.globl	batched_transpose_64x4_dword
	.p2align	8
	.type	batched_transpose_64x4_dword,@function
batched_transpose_64x4_dword:           ; @batched_transpose_64x4_dword
; %bb.0:
	s_load_dwordx8 s[8:15], s[4:5], 0x10
	s_waitcnt lgkmcnt(0)
	s_cmp_ge_u32 s6, s11
	s_cbranch_scc1 .LBB27_7
; %bb.1:
	s_load_dwordx4 s[16:19], s[4:5], 0x0
	s_add_i32 s0, s8, 3
	s_lshr_b32 s4, s0, 2
	s_add_i32 s0, s9, 63
	v_and_b32_e32 v1, 63, v0
	s_andn2_b32 s0, s0, 63
	v_lshrrev_b32_e32 v4, 6, v0
	s_mov_b32 s5, s9
	s_sub_i32 s7, 0, s0
	v_lshl_or_b32 v5, s6, 6, v1
	s_lshl_b32 s20, s10, 6
	v_mov_b32_e32 v1, 0
                                        ; implicit-def: $vgpr6
	s_branch .LBB27_3
.LBB27_2:                               ;   in Loop: Header=BB27_3 Depth=1
	s_or_b64 exec, exec, s[2:3]
	s_add_i32 s6, s6, s10
	s_cmp_lt_u32 s6, s11
	v_add_u32_e32 v5, s20, v5
	s_cbranch_scc0 .LBB27_7
.LBB27_3:                               ; =>This Inner Loop Header: Depth=1
	s_mul_hi_u32 s0, s14, s6
	s_add_i32 s0, s6, s0
	s_lshr_b32 s0, s0, s15
	s_mul_hi_u32 s1, s0, s12
	s_add_i32 s1, s0, s1
	s_lshr_b32 s21, s1, s13
	s_mul_i32 s1, s21, s4
	s_sub_i32 s1, s0, s1
	s_mul_i32 s0, s7, s0
	v_add_u32_e32 v2, s0, v5
	v_lshl_or_b32 v0, s1, 2, v4
	v_cmp_gt_u32_e32 vcc, s8, v0
	v_cmp_gt_u32_e64 s[0:1], s9, v2
	v_mov_b32_e32 v3, v1
	s_and_b64 s[0:1], vcc, s[0:1]
	s_and_saveexec_b64 s[2:3], s[0:1]
	s_cbranch_execz .LBB27_5
; %bb.4:                                ;   in Loop: Header=BB27_3 Depth=1
	s_waitcnt vmcnt(0)
	v_mov_b32_e32 v6, s8
	v_mad_u64_u32 v[6:7], s[22:23], s21, v6, v[0:1]
	v_mad_u64_u32 v[8:9], s[22:23], v6, s5, 0
	v_mov_b32_e32 v6, v9
	v_mad_u64_u32 v[6:7], s[22:23], v7, s5, v[6:7]
	v_mov_b32_e32 v9, v6
	v_lshlrev_b64 v[6:7], 2, v[8:9]
	s_waitcnt lgkmcnt(0)
	v_mov_b32_e32 v8, s19
	v_add_co_u32_e32 v9, vcc, s18, v6
	v_addc_co_u32_e32 v8, vcc, v8, v7, vcc
	v_lshlrev_b64 v[6:7], 2, v[2:3]
	v_add_co_u32_e32 v6, vcc, v9, v6
	v_addc_co_u32_e32 v7, vcc, v8, v7, vcc
	global_load_dword v6, v[6:7], off
.LBB27_5:                               ;   in Loop: Header=BB27_3 Depth=1
	s_or_b64 exec, exec, s[2:3]
	s_and_saveexec_b64 s[2:3], s[0:1]
	s_cbranch_execz .LBB27_2
; %bb.6:                                ;   in Loop: Header=BB27_3 Depth=1
	v_mov_b32_e32 v7, s5
	v_mad_u64_u32 v[2:3], s[0:1], s21, v7, v[2:3]
	v_mad_u64_u32 v[8:9], s[0:1], v2, s8, 0
	v_mov_b32_e32 v2, v9
	v_mad_u64_u32 v[2:3], s[0:1], v3, s8, v[2:3]
	v_mov_b32_e32 v9, v2
	v_lshlrev_b64 v[2:3], 2, v[8:9]
	s_waitcnt lgkmcnt(0)
	v_mov_b32_e32 v7, s17
	v_add_co_u32_e32 v8, vcc, s16, v2
	v_addc_co_u32_e32 v7, vcc, v7, v3, vcc
	v_lshlrev_b64 v[2:3], 2, v[0:1]
	v_add_co_u32_e32 v2, vcc, v8, v2
	v_addc_co_u32_e32 v3, vcc, v7, v3, vcc
	s_waitcnt vmcnt(0)
	global_store_dword v[2:3], v6, off
	s_branch .LBB27_2
.LBB27_7:
	s_endpgm
	.section	.rodata,"a",@progbits
	.p2align	6, 0x0
	.amdhsa_kernel batched_transpose_64x4_dword
		.amdhsa_group_segment_fixed_size 0
		.amdhsa_private_segment_fixed_size 0
		.amdhsa_kernarg_size 48
		.amdhsa_user_sgpr_count 6
		.amdhsa_user_sgpr_private_segment_buffer 1
		.amdhsa_user_sgpr_dispatch_ptr 0
		.amdhsa_user_sgpr_queue_ptr 0
		.amdhsa_user_sgpr_kernarg_segment_ptr 1
		.amdhsa_user_sgpr_dispatch_id 0
		.amdhsa_user_sgpr_flat_scratch_init 0
		.amdhsa_user_sgpr_kernarg_preload_length 0
		.amdhsa_user_sgpr_kernarg_preload_offset 0
		.amdhsa_user_sgpr_private_segment_size 0
		.amdhsa_uses_dynamic_stack 0
		.amdhsa_system_sgpr_private_segment_wavefront_offset 0
		.amdhsa_system_sgpr_workgroup_id_x 1
		.amdhsa_system_sgpr_workgroup_id_y 0
		.amdhsa_system_sgpr_workgroup_id_z 0
		.amdhsa_system_sgpr_workgroup_info 0
		.amdhsa_system_vgpr_workitem_id 0
		.amdhsa_next_free_vgpr 10
		.amdhsa_next_free_sgpr 24
		.amdhsa_accum_offset 12
		.amdhsa_reserve_vcc 1
		.amdhsa_reserve_flat_scratch 0
		.amdhsa_float_round_mode_32 0
		.amdhsa_float_round_mode_16_64 0
		.amdhsa_float_denorm_mode_32 3
		.amdhsa_float_denorm_mode_16_64 3
		.amdhsa_dx10_clamp 1
		.amdhsa_ieee_mode 1
		.amdhsa_fp16_overflow 0
		.amdhsa_tg_split 0
		.amdhsa_exception_fp_ieee_invalid_op 0
		.amdhsa_exception_fp_denorm_src 0
		.amdhsa_exception_fp_ieee_div_zero 0
		.amdhsa_exception_fp_ieee_overflow 0
		.amdhsa_exception_fp_ieee_underflow 0
		.amdhsa_exception_fp_ieee_inexact 0
		.amdhsa_exception_int_div_zero 0
	.end_amdhsa_kernel
	.text
.Lfunc_end27:
	.size	batched_transpose_64x4_dword, .Lfunc_end27-batched_transpose_64x4_dword
                                        ; -- End function
	.section	.AMDGPU.csdata,"",@progbits
; Kernel info:
; codeLenInByte = 372
; NumSgprs: 28
; NumVgprs: 10
; NumAgprs: 0
; TotalNumVgprs: 10
; ScratchSize: 0
; MemoryBound: 0
; FloatMode: 240
; IeeeMode: 1
; LDSByteSize: 0 bytes/workgroup (compile time only)
; SGPRBlocks: 3
; VGPRBlocks: 1
; NumSGPRsForWavesPerEU: 28
; NumVGPRsForWavesPerEU: 10
; AccumOffset: 12
; Occupancy: 8
; WaveLimiterHint : 0
; COMPUTE_PGM_RSRC2:SCRATCH_EN: 0
; COMPUTE_PGM_RSRC2:USER_SGPR: 6
; COMPUTE_PGM_RSRC2:TRAP_HANDLER: 0
; COMPUTE_PGM_RSRC2:TGID_X_EN: 1
; COMPUTE_PGM_RSRC2:TGID_Y_EN: 0
; COMPUTE_PGM_RSRC2:TGID_Z_EN: 0
; COMPUTE_PGM_RSRC2:TIDIG_COMP_CNT: 0
; COMPUTE_PGM_RSRC3_GFX90A:ACCUM_OFFSET: 2
; COMPUTE_PGM_RSRC3_GFX90A:TG_SPLIT: 0
	.text
	.protected	batched_transpose_64x4_half ; -- Begin function batched_transpose_64x4_half
	.globl	batched_transpose_64x4_half
	.p2align	8
	.type	batched_transpose_64x4_half,@function
batched_transpose_64x4_half:            ; @batched_transpose_64x4_half
; %bb.0:
	s_load_dwordx8 s[8:15], s[4:5], 0x10
	s_waitcnt lgkmcnt(0)
	s_cmp_ge_u32 s6, s11
	s_cbranch_scc1 .LBB28_7
; %bb.1:
	s_load_dwordx4 s[16:19], s[4:5], 0x0
	s_add_i32 s0, s8, 3
	s_lshr_b32 s4, s0, 2
	s_add_i32 s0, s9, 63
	v_and_b32_e32 v1, 63, v0
	s_andn2_b32 s0, s0, 63
	v_lshrrev_b32_e32 v4, 6, v0
	s_mov_b32 s5, s9
	s_sub_i32 s7, 0, s0
	v_lshl_or_b32 v5, s6, 6, v1
	s_lshl_b32 s20, s10, 6
	v_mov_b32_e32 v1, 0
                                        ; implicit-def: $vgpr6
	s_branch .LBB28_3
.LBB28_2:                               ;   in Loop: Header=BB28_3 Depth=1
	s_or_b64 exec, exec, s[2:3]
	s_add_i32 s6, s6, s10
	s_cmp_lt_u32 s6, s11
	v_add_u32_e32 v5, s20, v5
	s_cbranch_scc0 .LBB28_7
.LBB28_3:                               ; =>This Inner Loop Header: Depth=1
	s_mul_hi_u32 s0, s14, s6
	s_add_i32 s0, s6, s0
	s_lshr_b32 s0, s0, s15
	s_mul_hi_u32 s1, s0, s12
	s_add_i32 s1, s0, s1
	s_lshr_b32 s21, s1, s13
	s_mul_i32 s1, s21, s4
	s_sub_i32 s1, s0, s1
	s_mul_i32 s0, s7, s0
	v_add_u32_e32 v2, s0, v5
	v_lshl_or_b32 v0, s1, 2, v4
	v_cmp_gt_u32_e32 vcc, s8, v0
	v_cmp_gt_u32_e64 s[0:1], s9, v2
	v_mov_b32_e32 v3, v1
	s_and_b64 s[0:1], vcc, s[0:1]
	s_and_saveexec_b64 s[2:3], s[0:1]
	s_cbranch_execz .LBB28_5
; %bb.4:                                ;   in Loop: Header=BB28_3 Depth=1
	s_waitcnt vmcnt(0)
	v_mov_b32_e32 v6, s8
	v_mad_u64_u32 v[6:7], s[22:23], s21, v6, v[0:1]
	v_mad_u64_u32 v[8:9], s[22:23], v6, s5, 0
	v_mov_b32_e32 v6, v9
	v_mad_u64_u32 v[6:7], s[22:23], v7, s5, v[6:7]
	v_mov_b32_e32 v9, v6
	v_lshlrev_b64 v[6:7], 1, v[8:9]
	s_waitcnt lgkmcnt(0)
	v_mov_b32_e32 v8, s19
	v_add_co_u32_e32 v9, vcc, s18, v6
	v_addc_co_u32_e32 v8, vcc, v8, v7, vcc
	v_lshlrev_b64 v[6:7], 1, v[2:3]
	v_add_co_u32_e32 v6, vcc, v9, v6
	v_addc_co_u32_e32 v7, vcc, v8, v7, vcc
	global_load_ushort v6, v[6:7], off
.LBB28_5:                               ;   in Loop: Header=BB28_3 Depth=1
	s_or_b64 exec, exec, s[2:3]
	s_and_saveexec_b64 s[2:3], s[0:1]
	s_cbranch_execz .LBB28_2
; %bb.6:                                ;   in Loop: Header=BB28_3 Depth=1
	v_mov_b32_e32 v7, s5
	v_mad_u64_u32 v[2:3], s[0:1], s21, v7, v[2:3]
	v_mad_u64_u32 v[8:9], s[0:1], v2, s8, 0
	v_mov_b32_e32 v2, v9
	v_mad_u64_u32 v[2:3], s[0:1], v3, s8, v[2:3]
	v_mov_b32_e32 v9, v2
	v_lshlrev_b64 v[2:3], 1, v[8:9]
	s_waitcnt lgkmcnt(0)
	v_mov_b32_e32 v7, s17
	v_add_co_u32_e32 v8, vcc, s16, v2
	v_addc_co_u32_e32 v7, vcc, v7, v3, vcc
	v_lshlrev_b64 v[2:3], 1, v[0:1]
	v_add_co_u32_e32 v2, vcc, v8, v2
	v_addc_co_u32_e32 v3, vcc, v7, v3, vcc
	s_waitcnt vmcnt(0)
	global_store_short v[2:3], v6, off
	s_branch .LBB28_2
.LBB28_7:
	s_endpgm
	.section	.rodata,"a",@progbits
	.p2align	6, 0x0
	.amdhsa_kernel batched_transpose_64x4_half
		.amdhsa_group_segment_fixed_size 0
		.amdhsa_private_segment_fixed_size 0
		.amdhsa_kernarg_size 48
		.amdhsa_user_sgpr_count 6
		.amdhsa_user_sgpr_private_segment_buffer 1
		.amdhsa_user_sgpr_dispatch_ptr 0
		.amdhsa_user_sgpr_queue_ptr 0
		.amdhsa_user_sgpr_kernarg_segment_ptr 1
		.amdhsa_user_sgpr_dispatch_id 0
		.amdhsa_user_sgpr_flat_scratch_init 0
		.amdhsa_user_sgpr_kernarg_preload_length 0
		.amdhsa_user_sgpr_kernarg_preload_offset 0
		.amdhsa_user_sgpr_private_segment_size 0
		.amdhsa_uses_dynamic_stack 0
		.amdhsa_system_sgpr_private_segment_wavefront_offset 0
		.amdhsa_system_sgpr_workgroup_id_x 1
		.amdhsa_system_sgpr_workgroup_id_y 0
		.amdhsa_system_sgpr_workgroup_id_z 0
		.amdhsa_system_sgpr_workgroup_info 0
		.amdhsa_system_vgpr_workitem_id 0
		.amdhsa_next_free_vgpr 10
		.amdhsa_next_free_sgpr 24
		.amdhsa_accum_offset 12
		.amdhsa_reserve_vcc 1
		.amdhsa_reserve_flat_scratch 0
		.amdhsa_float_round_mode_32 0
		.amdhsa_float_round_mode_16_64 0
		.amdhsa_float_denorm_mode_32 3
		.amdhsa_float_denorm_mode_16_64 3
		.amdhsa_dx10_clamp 1
		.amdhsa_ieee_mode 1
		.amdhsa_fp16_overflow 0
		.amdhsa_tg_split 0
		.amdhsa_exception_fp_ieee_invalid_op 0
		.amdhsa_exception_fp_denorm_src 0
		.amdhsa_exception_fp_ieee_div_zero 0
		.amdhsa_exception_fp_ieee_overflow 0
		.amdhsa_exception_fp_ieee_underflow 0
		.amdhsa_exception_fp_ieee_inexact 0
		.amdhsa_exception_int_div_zero 0
	.end_amdhsa_kernel
	.text
.Lfunc_end28:
	.size	batched_transpose_64x4_half, .Lfunc_end28-batched_transpose_64x4_half
                                        ; -- End function
	.section	.AMDGPU.csdata,"",@progbits
; Kernel info:
; codeLenInByte = 372
; NumSgprs: 28
; NumVgprs: 10
; NumAgprs: 0
; TotalNumVgprs: 10
; ScratchSize: 0
; MemoryBound: 0
; FloatMode: 240
; IeeeMode: 1
; LDSByteSize: 0 bytes/workgroup (compile time only)
; SGPRBlocks: 3
; VGPRBlocks: 1
; NumSGPRsForWavesPerEU: 28
; NumVGPRsForWavesPerEU: 10
; AccumOffset: 12
; Occupancy: 8
; WaveLimiterHint : 0
; COMPUTE_PGM_RSRC2:SCRATCH_EN: 0
; COMPUTE_PGM_RSRC2:USER_SGPR: 6
; COMPUTE_PGM_RSRC2:TRAP_HANDLER: 0
; COMPUTE_PGM_RSRC2:TGID_X_EN: 1
; COMPUTE_PGM_RSRC2:TGID_Y_EN: 0
; COMPUTE_PGM_RSRC2:TGID_Z_EN: 0
; COMPUTE_PGM_RSRC2:TIDIG_COMP_CNT: 0
; COMPUTE_PGM_RSRC3_GFX90A:ACCUM_OFFSET: 2
; COMPUTE_PGM_RSRC3_GFX90A:TG_SPLIT: 0
	.text
	.protected	batched_transpose_64x4_byte ; -- Begin function batched_transpose_64x4_byte
	.globl	batched_transpose_64x4_byte
	.p2align	8
	.type	batched_transpose_64x4_byte,@function
batched_transpose_64x4_byte:            ; @batched_transpose_64x4_byte
; %bb.0:
	s_load_dwordx8 s[8:15], s[4:5], 0x10
	s_waitcnt lgkmcnt(0)
	s_cmp_ge_u32 s6, s11
	s_cbranch_scc1 .LBB29_7
; %bb.1:
	s_load_dwordx4 s[16:19], s[4:5], 0x0
	s_add_i32 s0, s8, 3
	s_lshr_b32 s4, s0, 2
	s_add_i32 s0, s9, 63
	v_and_b32_e32 v1, 63, v0
	s_andn2_b32 s0, s0, 63
	v_lshrrev_b32_e32 v4, 6, v0
	s_mov_b32 s5, s9
	s_sub_i32 s7, 0, s0
	v_lshl_or_b32 v5, s6, 6, v1
	s_lshl_b32 s20, s10, 6
	v_mov_b32_e32 v1, 0
                                        ; implicit-def: $vgpr6
	s_branch .LBB29_3
.LBB29_2:                               ;   in Loop: Header=BB29_3 Depth=1
	s_or_b64 exec, exec, s[2:3]
	s_add_i32 s6, s6, s10
	s_cmp_lt_u32 s6, s11
	v_add_u32_e32 v5, s20, v5
	s_cbranch_scc0 .LBB29_7
.LBB29_3:                               ; =>This Inner Loop Header: Depth=1
	s_mul_hi_u32 s0, s14, s6
	s_add_i32 s0, s6, s0
	s_lshr_b32 s0, s0, s15
	s_mul_hi_u32 s1, s0, s12
	s_add_i32 s1, s0, s1
	s_lshr_b32 s21, s1, s13
	s_mul_i32 s1, s21, s4
	s_sub_i32 s1, s0, s1
	s_mul_i32 s0, s7, s0
	v_add_u32_e32 v2, s0, v5
	v_lshl_or_b32 v0, s1, 2, v4
	v_cmp_gt_u32_e32 vcc, s8, v0
	v_cmp_gt_u32_e64 s[0:1], s9, v2
	v_mov_b32_e32 v3, v1
	s_and_b64 s[0:1], vcc, s[0:1]
	s_and_saveexec_b64 s[2:3], s[0:1]
	s_cbranch_execz .LBB29_5
; %bb.4:                                ;   in Loop: Header=BB29_3 Depth=1
	s_waitcnt vmcnt(0)
	v_mov_b32_e32 v6, s8
	v_mad_u64_u32 v[6:7], s[22:23], s21, v6, v[0:1]
	s_waitcnt lgkmcnt(0)
	v_pk_mov_b32 v[8:9], s[18:19], s[18:19] op_sel:[0,1]
	v_mad_u64_u32 v[8:9], s[22:23], v6, s5, v[8:9]
	v_mov_b32_e32 v6, v9
	v_mad_u64_u32 v[6:7], s[22:23], v7, s5, v[6:7]
	v_mov_b32_e32 v7, v6
	v_add_co_u32_e32 v6, vcc, v8, v2
	v_addc_co_u32_e32 v7, vcc, 0, v7, vcc
	global_load_ubyte v6, v[6:7], off
.LBB29_5:                               ;   in Loop: Header=BB29_3 Depth=1
	s_or_b64 exec, exec, s[2:3]
	s_and_saveexec_b64 s[2:3], s[0:1]
	s_cbranch_execz .LBB29_2
; %bb.6:                                ;   in Loop: Header=BB29_3 Depth=1
	v_mov_b32_e32 v7, s5
	v_mad_u64_u32 v[2:3], s[0:1], s21, v7, v[2:3]
	s_waitcnt lgkmcnt(0)
	v_pk_mov_b32 v[8:9], s[16:17], s[16:17] op_sel:[0,1]
	v_mad_u64_u32 v[8:9], s[0:1], v2, s8, v[8:9]
	v_mov_b32_e32 v2, v9
	v_mad_u64_u32 v[2:3], s[0:1], v3, s8, v[2:3]
	v_mov_b32_e32 v3, v2
	v_add_co_u32_e32 v2, vcc, v8, v0
	v_addc_co_u32_e32 v3, vcc, 0, v3, vcc
	s_waitcnt vmcnt(0)
	global_store_byte v[2:3], v6, off
	s_branch .LBB29_2
.LBB29_7:
	s_endpgm
	.section	.rodata,"a",@progbits
	.p2align	6, 0x0
	.amdhsa_kernel batched_transpose_64x4_byte
		.amdhsa_group_segment_fixed_size 0
		.amdhsa_private_segment_fixed_size 0
		.amdhsa_kernarg_size 48
		.amdhsa_user_sgpr_count 6
		.amdhsa_user_sgpr_private_segment_buffer 1
		.amdhsa_user_sgpr_dispatch_ptr 0
		.amdhsa_user_sgpr_queue_ptr 0
		.amdhsa_user_sgpr_kernarg_segment_ptr 1
		.amdhsa_user_sgpr_dispatch_id 0
		.amdhsa_user_sgpr_flat_scratch_init 0
		.amdhsa_user_sgpr_kernarg_preload_length 0
		.amdhsa_user_sgpr_kernarg_preload_offset 0
		.amdhsa_user_sgpr_private_segment_size 0
		.amdhsa_uses_dynamic_stack 0
		.amdhsa_system_sgpr_private_segment_wavefront_offset 0
		.amdhsa_system_sgpr_workgroup_id_x 1
		.amdhsa_system_sgpr_workgroup_id_y 0
		.amdhsa_system_sgpr_workgroup_id_z 0
		.amdhsa_system_sgpr_workgroup_info 0
		.amdhsa_system_vgpr_workitem_id 0
		.amdhsa_next_free_vgpr 10
		.amdhsa_next_free_sgpr 24
		.amdhsa_accum_offset 12
		.amdhsa_reserve_vcc 1
		.amdhsa_reserve_flat_scratch 0
		.amdhsa_float_round_mode_32 0
		.amdhsa_float_round_mode_16_64 0
		.amdhsa_float_denorm_mode_32 3
		.amdhsa_float_denorm_mode_16_64 3
		.amdhsa_dx10_clamp 1
		.amdhsa_ieee_mode 1
		.amdhsa_fp16_overflow 0
		.amdhsa_tg_split 0
		.amdhsa_exception_fp_ieee_invalid_op 0
		.amdhsa_exception_fp_denorm_src 0
		.amdhsa_exception_fp_ieee_div_zero 0
		.amdhsa_exception_fp_ieee_overflow 0
		.amdhsa_exception_fp_ieee_underflow 0
		.amdhsa_exception_fp_ieee_inexact 0
		.amdhsa_exception_int_div_zero 0
	.end_amdhsa_kernel
	.text
.Lfunc_end29:
	.size	batched_transpose_64x4_byte, .Lfunc_end29-batched_transpose_64x4_byte
                                        ; -- End function
	.section	.AMDGPU.csdata,"",@progbits
; Kernel info:
; codeLenInByte = 332
; NumSgprs: 28
; NumVgprs: 10
; NumAgprs: 0
; TotalNumVgprs: 10
; ScratchSize: 0
; MemoryBound: 0
; FloatMode: 240
; IeeeMode: 1
; LDSByteSize: 0 bytes/workgroup (compile time only)
; SGPRBlocks: 3
; VGPRBlocks: 1
; NumSGPRsForWavesPerEU: 28
; NumVGPRsForWavesPerEU: 10
; AccumOffset: 12
; Occupancy: 8
; WaveLimiterHint : 0
; COMPUTE_PGM_RSRC2:SCRATCH_EN: 0
; COMPUTE_PGM_RSRC2:USER_SGPR: 6
; COMPUTE_PGM_RSRC2:TRAP_HANDLER: 0
; COMPUTE_PGM_RSRC2:TGID_X_EN: 1
; COMPUTE_PGM_RSRC2:TGID_Y_EN: 0
; COMPUTE_PGM_RSRC2:TGID_Z_EN: 0
; COMPUTE_PGM_RSRC2:TIDIG_COMP_CNT: 0
; COMPUTE_PGM_RSRC3_GFX90A:ACCUM_OFFSET: 2
; COMPUTE_PGM_RSRC3_GFX90A:TG_SPLIT: 0
	.text
	.protected	batched_transpose_32x32_pack_2x2_ediv_2x2_half ; -- Begin function batched_transpose_32x32_pack_2x2_ediv_2x2_half
	.globl	batched_transpose_32x32_pack_2x2_ediv_2x2_half
	.p2align	8
	.type	batched_transpose_32x32_pack_2x2_ediv_2x2_half,@function
batched_transpose_32x32_pack_2x2_ediv_2x2_half: ; @batched_transpose_32x32_pack_2x2_ediv_2x2_half
; %bb.0:
	s_load_dwordx8 s[8:15], s[4:5], 0x10
	s_waitcnt lgkmcnt(0)
	s_cmp_ge_u32 s6, s11
	s_cbranch_scc1 .LBB30_7
; %bb.1:
	s_load_dwordx4 s[16:19], s[4:5], 0x0
	s_add_i32 s0, s8, 31
	s_lshr_b32 s7, s0, 5
	s_add_i32 s0, s9, 31
	v_and_b32_e32 v4, 15, v0
	s_mov_b32 s5, 0
	v_lshrrev_b32_e32 v0, 4, v0
	v_mul_u32_u24_e32 v1, 17, v4
	s_and_b32 s1, s0, 0xffffffe0
	s_lshr_b32 s0, s0, 1
	s_lshr_b32 s2, s8, 1
	s_lshr_b32 s4, s9, 1
	v_lshlrev_b32_e32 v5, 1, v0
	v_add_lshl_u32 v6, v1, v0, 2
	v_mul_u32_u24_e32 v0, 17, v0
	s_mov_b32 s3, s5
	s_and_b32 s0, s0, 0x7ffffff0
	v_add_lshl_u32 v7, v0, v4, 2
	s_mov_b32 s24, s9
	s_sub_i32 s25, 0, s1
	v_lshl_or_b32 v8, s6, 5, v5
	s_lshl_b32 s26, s10, 5
	s_sub_i32 s27, 0, s0
	v_lshl_or_b32 v9, s6, 4, v4
	s_lshl_b32 s28, s10, 4
	s_lshl_b64 s[20:21], s[4:5], 2
	s_mov_b32 s5, 0xffff0000
	s_lshl_b64 s[22:23], s[2:3], 2
	v_mov_b32_e32 v1, 0
	s_branch .LBB30_3
.LBB30_2:                               ;   in Loop: Header=BB30_3 Depth=1
	s_or_b64 exec, exec, s[0:1]
	s_add_i32 s6, s6, s10
	v_add_u32_e32 v8, s26, v8
	s_cmp_lt_u32 s6, s11
	v_add_u32_e32 v9, s28, v9
	s_cbranch_scc0 .LBB30_7
.LBB30_3:                               ; =>This Inner Loop Header: Depth=1
	s_mul_hi_u32 s0, s14, s6
	s_add_i32 s0, s6, s0
	s_lshr_b32 s29, s0, s15
	s_mul_hi_u32 s0, s29, s12
	s_add_i32 s0, s29, s0
	s_lshr_b32 s3, s0, s13
	s_mul_i32 s0, s3, s7
	s_sub_i32 s30, s29, s0
	s_mul_i32 s0, s27, s29
	v_add_u32_e32 v2, s0, v9
	v_lshl_or_b32 v0, s30, 5, v5
	v_cmp_gt_u32_e32 vcc, s8, v0
	v_cmp_gt_u32_e64 s[0:1], s4, v2
	s_and_b64 s[34:35], vcc, s[0:1]
	s_waitcnt lgkmcnt(0)
	s_barrier
	s_and_saveexec_b64 s[0:1], s[34:35]
	s_cbranch_execz .LBB30_5
; %bb.4:                                ;   in Loop: Header=BB30_3 Depth=1
	v_mov_b32_e32 v3, s8
	v_mad_u64_u32 v[10:11], s[34:35], s3, v3, v[0:1]
	v_mad_u64_u32 v[12:13], s[34:35], v10, s4, 0
	v_mov_b32_e32 v0, v13
	v_mad_u64_u32 v[10:11], s[34:35], v11, s4, v[0:1]
	v_mov_b32_e32 v13, v10
	v_lshlrev_b64 v[10:11], 2, v[12:13]
	v_mov_b32_e32 v3, v1
	v_mov_b32_e32 v0, s19
	v_add_co_u32_e32 v10, vcc, s18, v10
	v_addc_co_u32_e32 v0, vcc, v0, v11, vcc
	v_lshlrev_b64 v[2:3], 2, v[2:3]
	v_add_co_u32_e32 v2, vcc, v10, v2
	v_addc_co_u32_e32 v3, vcc, v0, v3, vcc
	global_load_dword v0, v[2:3], off
	v_mov_b32_e32 v10, s21
	v_add_co_u32_e32 v2, vcc, s20, v2
	v_addc_co_u32_e32 v3, vcc, v3, v10, vcc
	global_load_dword v2, v[2:3], off
	s_waitcnt vmcnt(1)
	v_and_b32_e32 v3, 0xffff, v0
	v_lshrrev_b32_e32 v0, 16, v0
	s_waitcnt vmcnt(0)
	v_lshl_or_b32 v3, v2, 16, v3
	v_and_or_b32 v0, v2, s5, v0
	ds_write_b32 v6, v3
	ds_write_b32 v6, v0 offset:1088
.LBB30_5:                               ;   in Loop: Header=BB30_3 Depth=1
	s_or_b64 exec, exec, s[0:1]
	s_mul_i32 s0, s25, s29
	v_lshl_or_b32 v2, s30, 4, v4
	v_add_u32_e32 v0, s0, v8
	v_cmp_gt_u32_e32 vcc, s2, v2
	v_cmp_gt_u32_e64 s[0:1], s9, v0
	s_and_b64 s[30:31], s[0:1], vcc
	s_waitcnt lgkmcnt(0)
	s_barrier
	s_and_saveexec_b64 s[0:1], s[30:31]
	s_cbranch_execz .LBB30_2
; %bb.6:                                ;   in Loop: Header=BB30_3 Depth=1
	v_mov_b32_e32 v3, s24
	v_mad_u64_u32 v[10:11], s[30:31], s3, v3, v[0:1]
	v_mad_u64_u32 v[12:13], s[30:31], v10, s2, 0
	v_mov_b32_e32 v0, v13
	v_mad_u64_u32 v[10:11], s[30:31], v11, s2, v[0:1]
	v_mov_b32_e32 v13, v10
	v_lshlrev_b64 v[10:11], 2, v[12:13]
	ds_read_b32 v14, v7
	ds_read_b32 v15, v7 offset:1088
	v_mov_b32_e32 v3, v1
	v_mov_b32_e32 v0, s17
	v_add_co_u32_e32 v10, vcc, s16, v10
	v_addc_co_u32_e32 v0, vcc, v0, v11, vcc
	v_lshlrev_b64 v[2:3], 2, v[2:3]
	v_add_co_u32_e32 v2, vcc, v10, v2
	v_addc_co_u32_e32 v3, vcc, v0, v3, vcc
	s_waitcnt lgkmcnt(1)
	global_store_dword v[2:3], v14, off
	v_mov_b32_e32 v0, s23
	v_add_co_u32_e32 v2, vcc, s22, v2
	v_addc_co_u32_e32 v3, vcc, v3, v0, vcc
	s_waitcnt lgkmcnt(0)
	global_store_dword v[2:3], v15, off
	s_branch .LBB30_2
.LBB30_7:
	s_endpgm
	.section	.rodata,"a",@progbits
	.p2align	6, 0x0
	.amdhsa_kernel batched_transpose_32x32_pack_2x2_ediv_2x2_half
		.amdhsa_group_segment_fixed_size 2176
		.amdhsa_private_segment_fixed_size 0
		.amdhsa_kernarg_size 48
		.amdhsa_user_sgpr_count 6
		.amdhsa_user_sgpr_private_segment_buffer 1
		.amdhsa_user_sgpr_dispatch_ptr 0
		.amdhsa_user_sgpr_queue_ptr 0
		.amdhsa_user_sgpr_kernarg_segment_ptr 1
		.amdhsa_user_sgpr_dispatch_id 0
		.amdhsa_user_sgpr_flat_scratch_init 0
		.amdhsa_user_sgpr_kernarg_preload_length 0
		.amdhsa_user_sgpr_kernarg_preload_offset 0
		.amdhsa_user_sgpr_private_segment_size 0
		.amdhsa_uses_dynamic_stack 0
		.amdhsa_system_sgpr_private_segment_wavefront_offset 0
		.amdhsa_system_sgpr_workgroup_id_x 1
		.amdhsa_system_sgpr_workgroup_id_y 0
		.amdhsa_system_sgpr_workgroup_id_z 0
		.amdhsa_system_sgpr_workgroup_info 0
		.amdhsa_system_vgpr_workitem_id 0
		.amdhsa_next_free_vgpr 16
		.amdhsa_next_free_sgpr 36
		.amdhsa_accum_offset 16
		.amdhsa_reserve_vcc 1
		.amdhsa_reserve_flat_scratch 0
		.amdhsa_float_round_mode_32 0
		.amdhsa_float_round_mode_16_64 0
		.amdhsa_float_denorm_mode_32 3
		.amdhsa_float_denorm_mode_16_64 3
		.amdhsa_dx10_clamp 1
		.amdhsa_ieee_mode 1
		.amdhsa_fp16_overflow 0
		.amdhsa_tg_split 0
		.amdhsa_exception_fp_ieee_invalid_op 0
		.amdhsa_exception_fp_denorm_src 0
		.amdhsa_exception_fp_ieee_div_zero 0
		.amdhsa_exception_fp_ieee_overflow 0
		.amdhsa_exception_fp_ieee_underflow 0
		.amdhsa_exception_fp_ieee_inexact 0
		.amdhsa_exception_int_div_zero 0
	.end_amdhsa_kernel
	.text
.Lfunc_end30:
	.size	batched_transpose_32x32_pack_2x2_ediv_2x2_half, .Lfunc_end30-batched_transpose_32x32_pack_2x2_ediv_2x2_half
                                        ; -- End function
	.section	.AMDGPU.csdata,"",@progbits
; Kernel info:
; codeLenInByte = 620
; NumSgprs: 40
; NumVgprs: 16
; NumAgprs: 0
; TotalNumVgprs: 16
; ScratchSize: 0
; MemoryBound: 0
; FloatMode: 240
; IeeeMode: 1
; LDSByteSize: 2176 bytes/workgroup (compile time only)
; SGPRBlocks: 4
; VGPRBlocks: 1
; NumSGPRsForWavesPerEU: 40
; NumVGPRsForWavesPerEU: 16
; AccumOffset: 16
; Occupancy: 8
; WaveLimiterHint : 0
; COMPUTE_PGM_RSRC2:SCRATCH_EN: 0
; COMPUTE_PGM_RSRC2:USER_SGPR: 6
; COMPUTE_PGM_RSRC2:TRAP_HANDLER: 0
; COMPUTE_PGM_RSRC2:TGID_X_EN: 1
; COMPUTE_PGM_RSRC2:TGID_Y_EN: 0
; COMPUTE_PGM_RSRC2:TGID_Z_EN: 0
; COMPUTE_PGM_RSRC2:TIDIG_COMP_CNT: 0
; COMPUTE_PGM_RSRC3_GFX90A:ACCUM_OFFSET: 3
; COMPUTE_PGM_RSRC3_GFX90A:TG_SPLIT: 0
	.text
	.protected	batched_transpose_32x32_pack_2x2_ediv_1x2_half ; -- Begin function batched_transpose_32x32_pack_2x2_ediv_1x2_half
	.globl	batched_transpose_32x32_pack_2x2_ediv_1x2_half
	.p2align	8
	.type	batched_transpose_32x32_pack_2x2_ediv_1x2_half,@function
batched_transpose_32x32_pack_2x2_ediv_1x2_half: ; @batched_transpose_32x32_pack_2x2_ediv_1x2_half
; %bb.0:
	s_load_dwordx8 s[8:15], s[4:5], 0x10
	s_waitcnt lgkmcnt(0)
	s_cmp_ge_u32 s6, s11
	s_cbranch_scc1 .LBB31_11
; %bb.1:
	s_load_dwordx4 s[16:19], s[4:5], 0x0
	s_lshr_b32 s7, s8, 1
	s_add_i32 s0, s8, 31
	s_mov_b32 s3, 0
	s_lshr_b32 s22, s0, 5
	s_lshl_b32 s0, s7, 4
	s_mov_b32 s1, s3
	s_add_i32 s4, s9, 31
	v_and_b32_e32 v8, 15, v0
	s_lshl_b64 s[0:1], s[0:1], 2
	v_lshrrev_b32_e32 v9, 4, v0
	v_mul_u32_u24_e32 v0, 17, v8
	s_waitcnt lgkmcnt(0)
	s_add_u32 s23, s16, s0
	s_mov_b32 s2, s9
	v_add_lshl_u32 v11, v0, v9, 2
	v_mul_u32_u24_e32 v0, 17, v9
	s_addc_u32 s24, s17, s1
	s_andn2_b32 s4, s4, 31
	v_lshlrev_b32_e32 v10, 1, v9
	v_add_lshl_u32 v12, v0, v8, 2
	s_sub_i32 s25, 0, s4
	s_lshl_b32 s26, s6, 5
	s_lshl_b32 s27, s10, 5
	v_mov_b32_e32 v13, s8
	s_lshl_b64 s[4:5], s[2:3], 1
	s_mov_b32 s3, 0xffff
	s_mov_b32 s28, 0x5040100
	;; [unrolled: 1-line block ×4, first 2 shown]
	v_mov_b32_e32 v14, s9
	v_mov_b32_e32 v1, 0
                                        ; implicit-def: $vgpr2_vgpr3
	s_branch .LBB31_3
.LBB31_2:                               ;   in Loop: Header=BB31_3 Depth=1
	s_or_b64 exec, exec, s[0:1]
	s_add_i32 s6, s6, s10
	s_add_i32 s26, s26, s27
	s_cmp_lt_u32 s6, s11
	s_cbranch_scc0 .LBB31_11
.LBB31_3:                               ; =>This Inner Loop Header: Depth=1
	s_mul_hi_u32 s0, s14, s6
	s_add_i32 s0, s6, s0
	s_lshr_b32 s0, s0, s15
	s_mul_hi_u32 s1, s0, s12
	s_add_i32 s1, s0, s1
	s_lshr_b32 s31, s1, s13
	s_mul_i32 s1, s31, s22
	s_sub_i32 s33, s0, s1
	s_mul_i32 s34, s25, s0
	s_add_i32 s34, s34, s26
	v_lshl_or_b32 v0, s33, 5, v10
	v_add_u32_e32 v4, s34, v8
	s_waitcnt lgkmcnt(0)
	v_mad_u64_u32 v[6:7], s[0:1], s31, v13, v[0:1]
	v_mov_b32_e32 v5, v1
	v_mad_u64_u32 v[16:17], s[0:1], v6, s2, v[4:5]
	v_mov_b32_e32 v6, v17
	v_mad_u64_u32 v[6:7], s[0:1], v7, s2, v[6:7]
	v_mov_b32_e32 v17, v6
	v_cmp_gt_u32_e32 vcc, s8, v0
	v_cmp_gt_u32_e64 s[0:1], s9, v4
	s_and_b64 s[0:1], vcc, s[0:1]
	v_lshlrev_b64 v[6:7], 1, v[16:17]
	s_barrier
	s_and_saveexec_b64 s[20:21], s[0:1]
	s_cbranch_execz .LBB31_5
; %bb.4:                                ;   in Loop: Header=BB31_3 Depth=1
	v_mov_b32_e32 v0, s19
	v_add_co_u32_e64 v16, s[0:1], s18, v6
	v_addc_co_u32_e64 v17, s[0:1], v0, v7, s[0:1]
	v_mov_b32_e32 v0, s5
	v_add_co_u32_e64 v18, s[0:1], s4, v16
	v_addc_co_u32_e64 v19, s[0:1], v17, v0, s[0:1]
	global_load_ushort v0, v[16:17], off
	global_load_ushort v5, v[18:19], off
	s_waitcnt vmcnt(1)
	v_bfi_b32 v2, s3, v0, v2
	s_waitcnt vmcnt(0)
	v_bfi_b32 v3, s3, v5, v3
.LBB31_5:                               ;   in Loop: Header=BB31_3 Depth=1
	s_or_b64 exec, exec, s[20:21]
	v_add_u32_e32 v0, 16, v4
	v_cmp_gt_u32_e64 s[0:1], s9, v0
	s_and_b64 s[20:21], vcc, s[0:1]
	s_and_saveexec_b64 s[0:1], s[20:21]
	s_cbranch_execz .LBB31_7
; %bb.6:                                ;   in Loop: Header=BB31_3 Depth=1
	v_mov_b32_e32 v0, s19
	v_add_co_u32_e32 v4, vcc, s18, v6
	v_addc_co_u32_e32 v5, vcc, v0, v7, vcc
	v_mov_b32_e32 v0, s5
	v_add_co_u32_e32 v6, vcc, s4, v4
	v_addc_co_u32_e32 v7, vcc, v5, v0, vcc
	global_load_ushort v0, v[4:5], off offset:32
	global_load_ushort v15, v[6:7], off offset:32
	s_waitcnt vmcnt(1)
	v_perm_b32 v2, v0, v2, s28
	s_waitcnt vmcnt(0)
	v_perm_b32 v3, v15, v3, s28
.LBB31_7:                               ;   in Loop: Header=BB31_3 Depth=1
	s_or_b64 exec, exec, s[0:1]
	v_perm_b32 v0, v2, v3, s29
	v_perm_b32 v4, v2, v3, s30
	ds_write_b32 v11, v0
	ds_write_b32 v11, v4 offset:1088
	v_add_u32_e32 v0, s34, v9
	v_lshl_or_b32 v4, s33, 4, v8
	v_mad_u64_u32 v[6:7], s[0:1], s31, v14, v[0:1]
	v_mov_b32_e32 v5, v1
	v_mad_u64_u32 v[16:17], s[0:1], v6, s7, v[4:5]
	v_mov_b32_e32 v6, v17
	v_mad_u64_u32 v[6:7], s[0:1], v7, s7, v[6:7]
	s_waitcnt lgkmcnt(0)
	s_barrier
	v_mov_b32_e32 v17, v6
	ds_read_b32 v6, v12 offset:1088
	v_cmp_gt_u32_e32 vcc, s7, v4
	v_cmp_gt_u32_e64 s[0:1], s9, v0
	s_and_b64 s[0:1], s[0:1], vcc
	v_lshlrev_b64 v[4:5], 2, v[16:17]
	s_and_saveexec_b64 s[20:21], s[0:1]
	s_cbranch_execz .LBB31_9
; %bb.8:                                ;   in Loop: Header=BB31_3 Depth=1
	ds_read_b32 v15, v12
	v_mov_b32_e32 v7, s17
	v_add_co_u32_e64 v16, s[0:1], s16, v4
	v_addc_co_u32_e64 v17, s[0:1], v7, v5, s[0:1]
	s_waitcnt lgkmcnt(0)
	global_store_dword v[16:17], v15, off
.LBB31_9:                               ;   in Loop: Header=BB31_3 Depth=1
	s_or_b64 exec, exec, s[20:21]
	v_add_u32_e32 v0, 16, v0
	v_cmp_gt_u32_e64 s[0:1], s9, v0
	s_and_b64 s[20:21], s[0:1], vcc
	s_and_saveexec_b64 s[0:1], s[20:21]
	s_cbranch_execz .LBB31_2
; %bb.10:                               ;   in Loop: Header=BB31_3 Depth=1
	v_mov_b32_e32 v0, s24
	v_add_co_u32_e32 v4, vcc, s23, v4
	v_addc_co_u32_e32 v5, vcc, v0, v5, vcc
	s_waitcnt lgkmcnt(0)
	global_store_dword v[4:5], v6, off
	s_branch .LBB31_2
.LBB31_11:
	s_endpgm
	.section	.rodata,"a",@progbits
	.p2align	6, 0x0
	.amdhsa_kernel batched_transpose_32x32_pack_2x2_ediv_1x2_half
		.amdhsa_group_segment_fixed_size 2176
		.amdhsa_private_segment_fixed_size 0
		.amdhsa_kernarg_size 48
		.amdhsa_user_sgpr_count 6
		.amdhsa_user_sgpr_private_segment_buffer 1
		.amdhsa_user_sgpr_dispatch_ptr 0
		.amdhsa_user_sgpr_queue_ptr 0
		.amdhsa_user_sgpr_kernarg_segment_ptr 1
		.amdhsa_user_sgpr_dispatch_id 0
		.amdhsa_user_sgpr_flat_scratch_init 0
		.amdhsa_user_sgpr_kernarg_preload_length 0
		.amdhsa_user_sgpr_kernarg_preload_offset 0
		.amdhsa_user_sgpr_private_segment_size 0
		.amdhsa_uses_dynamic_stack 0
		.amdhsa_system_sgpr_private_segment_wavefront_offset 0
		.amdhsa_system_sgpr_workgroup_id_x 1
		.amdhsa_system_sgpr_workgroup_id_y 0
		.amdhsa_system_sgpr_workgroup_id_z 0
		.amdhsa_system_sgpr_workgroup_info 0
		.amdhsa_system_vgpr_workitem_id 0
		.amdhsa_next_free_vgpr 20
		.amdhsa_next_free_sgpr 35
		.amdhsa_accum_offset 20
		.amdhsa_reserve_vcc 1
		.amdhsa_reserve_flat_scratch 0
		.amdhsa_float_round_mode_32 0
		.amdhsa_float_round_mode_16_64 0
		.amdhsa_float_denorm_mode_32 3
		.amdhsa_float_denorm_mode_16_64 3
		.amdhsa_dx10_clamp 1
		.amdhsa_ieee_mode 1
		.amdhsa_fp16_overflow 0
		.amdhsa_tg_split 0
		.amdhsa_exception_fp_ieee_invalid_op 0
		.amdhsa_exception_fp_denorm_src 0
		.amdhsa_exception_fp_ieee_div_zero 0
		.amdhsa_exception_fp_ieee_overflow 0
		.amdhsa_exception_fp_ieee_underflow 0
		.amdhsa_exception_fp_ieee_inexact 0
		.amdhsa_exception_int_div_zero 0
	.end_amdhsa_kernel
	.text
.Lfunc_end31:
	.size	batched_transpose_32x32_pack_2x2_ediv_1x2_half, .Lfunc_end31-batched_transpose_32x32_pack_2x2_ediv_1x2_half
                                        ; -- End function
	.section	.AMDGPU.csdata,"",@progbits
; Kernel info:
; codeLenInByte = 732
; NumSgprs: 39
; NumVgprs: 20
; NumAgprs: 0
; TotalNumVgprs: 20
; ScratchSize: 0
; MemoryBound: 0
; FloatMode: 240
; IeeeMode: 1
; LDSByteSize: 2176 bytes/workgroup (compile time only)
; SGPRBlocks: 4
; VGPRBlocks: 2
; NumSGPRsForWavesPerEU: 39
; NumVGPRsForWavesPerEU: 20
; AccumOffset: 20
; Occupancy: 8
; WaveLimiterHint : 0
; COMPUTE_PGM_RSRC2:SCRATCH_EN: 0
; COMPUTE_PGM_RSRC2:USER_SGPR: 6
; COMPUTE_PGM_RSRC2:TRAP_HANDLER: 0
; COMPUTE_PGM_RSRC2:TGID_X_EN: 1
; COMPUTE_PGM_RSRC2:TGID_Y_EN: 0
; COMPUTE_PGM_RSRC2:TGID_Z_EN: 0
; COMPUTE_PGM_RSRC2:TIDIG_COMP_CNT: 0
; COMPUTE_PGM_RSRC3_GFX90A:ACCUM_OFFSET: 4
; COMPUTE_PGM_RSRC3_GFX90A:TG_SPLIT: 0
	.text
	.protected	batched_transpose_32x32_pack_2x2_ediv_2x1_half ; -- Begin function batched_transpose_32x32_pack_2x2_ediv_2x1_half
	.globl	batched_transpose_32x32_pack_2x2_ediv_2x1_half
	.p2align	8
	.type	batched_transpose_32x32_pack_2x2_ediv_2x1_half,@function
batched_transpose_32x32_pack_2x2_ediv_2x1_half: ; @batched_transpose_32x32_pack_2x2_ediv_2x1_half
; %bb.0:
	s_load_dwordx8 s[8:15], s[4:5], 0x10
	s_waitcnt lgkmcnt(0)
	s_cmp_ge_u32 s6, s11
	s_cbranch_scc1 .LBB32_11
; %bb.1:
	s_load_dwordx4 s[16:19], s[4:5], 0x0
	s_lshr_b32 s7, s9, 1
	s_add_i32 s0, s8, 31
	s_mov_b32 s3, 0
	s_lshr_b32 s22, s0, 5
	s_lshl_b32 s0, s7, 4
	s_mov_b32 s1, s3
	s_add_i32 s4, s9, 31
	s_lshl_b64 s[0:1], s[0:1], 2
	s_waitcnt lgkmcnt(0)
	s_add_u32 s23, s18, s0
	v_and_b32_e32 v8, 15, v0
	s_addc_u32 s24, s19, s1
	s_and_b32 s1, s4, 0xffffffe0
	v_lshrrev_b32_e32 v9, 4, v0
	v_mul_u32_u24_e32 v0, 17, v8
	s_sub_i32 s25, 0, s1
	s_lshr_b32 s1, s4, 1
	s_mov_b32 s2, s8
	v_add_lshl_u32 v10, v0, v9, 2
	v_lshlrev_b32_e32 v0, 1, v9
	v_mul_u32_u24_e32 v1, 17, v9
	s_and_b32 s1, s1, 0x7ffffff0
	v_add_lshl_u32 v11, v1, v8, 2
	v_lshl_or_b32 v12, s6, 5, v0
	s_lshl_b32 s26, s10, 5
	s_sub_i32 s27, 0, s1
	v_lshl_or_b32 v13, s6, 4, v8
	s_lshl_b32 s28, s10, 4
	v_mov_b32_e32 v14, s8
	s_mov_b32 s29, 0xffff0000
	v_mov_b32_e32 v15, s9
	s_lshl_b64 s[4:5], s[2:3], 1
	v_mov_b32_e32 v1, 0
                                        ; implicit-def: $vgpr2_vgpr3
	s_branch .LBB32_3
.LBB32_2:                               ;   in Loop: Header=BB32_3 Depth=1
	s_or_b64 exec, exec, s[0:1]
	s_add_i32 s6, s6, s10
	v_add_u32_e32 v12, s26, v12
	s_cmp_lt_u32 s6, s11
	v_add_u32_e32 v13, s28, v13
	s_cbranch_scc0 .LBB32_11
.LBB32_3:                               ; =>This Inner Loop Header: Depth=1
	s_mul_hi_u32 s0, s14, s6
	s_add_i32 s0, s6, s0
	s_lshr_b32 s30, s0, s15
	s_mul_hi_u32 s0, s30, s12
	s_add_i32 s0, s30, s0
	s_lshr_b32 s3, s0, s13
	s_mul_i32 s0, s3, s22
	s_sub_i32 s0, s30, s0
	s_lshl_b32 s31, s0, 5
	s_mul_i32 s1, s27, s30
	v_or_b32_e32 v0, s31, v9
	v_add_u32_e32 v4, s1, v13
	v_mad_u64_u32 v[6:7], s[0:1], s3, v14, v[0:1]
	s_waitcnt lgkmcnt(1)
	v_mov_b32_e32 v5, v1
	s_waitcnt lgkmcnt(0)
	v_mad_u64_u32 v[16:17], s[0:1], v6, s7, v[4:5]
	v_mov_b32_e32 v6, v17
	v_mad_u64_u32 v[6:7], s[0:1], v7, s7, v[6:7]
	v_mov_b32_e32 v17, v6
	v_cmp_gt_u32_e64 s[0:1], s8, v0
	v_cmp_gt_u32_e32 vcc, s7, v4
	s_and_b64 s[0:1], s[0:1], vcc
	v_lshlrev_b64 v[4:5], 2, v[16:17]
	s_barrier
	s_and_saveexec_b64 s[20:21], s[0:1]
	s_cbranch_execz .LBB32_5
; %bb.4:                                ;   in Loop: Header=BB32_3 Depth=1
	v_mov_b32_e32 v2, s19
	v_add_co_u32_e64 v6, s[0:1], s18, v4
	v_addc_co_u32_e64 v7, s[0:1], v2, v5, s[0:1]
	global_load_dword v2, v[6:7], off
.LBB32_5:                               ;   in Loop: Header=BB32_3 Depth=1
	s_or_b64 exec, exec, s[20:21]
	v_add_u32_e32 v0, 16, v0
	v_cmp_gt_u32_e64 s[0:1], s8, v0
	s_and_b64 s[20:21], s[0:1], vcc
	s_and_saveexec_b64 s[0:1], s[20:21]
	s_cbranch_execz .LBB32_7
; %bb.6:                                ;   in Loop: Header=BB32_3 Depth=1
	v_mov_b32_e32 v0, s24
	v_add_co_u32_e32 v4, vcc, s23, v4
	v_addc_co_u32_e32 v5, vcc, v0, v5, vcc
	global_load_dword v3, v[4:5], off
.LBB32_7:                               ;   in Loop: Header=BB32_3 Depth=1
	s_or_b64 exec, exec, s[0:1]
	s_waitcnt vmcnt(0)
	v_and_b32_e32 v0, 0xffff, v2
	v_lshl_or_b32 v0, v3, 16, v0
	v_lshrrev_b32_e32 v4, 16, v2
	s_mul_i32 s0, s25, s30
	v_and_or_b32 v4, v3, s29, v4
	ds_write_b32 v10, v0
	ds_write_b32 v10, v4 offset:1088
	v_add_u32_e32 v0, s0, v12
	v_or_b32_e32 v4, s31, v8
	v_mad_u64_u32 v[6:7], s[0:1], s3, v15, v[0:1]
	v_mov_b32_e32 v5, v1
	s_waitcnt lgkmcnt(0)
	s_barrier
	v_mad_u64_u32 v[18:19], s[0:1], v6, s2, v[4:5]
	ds_read_b32 v5, v11
	ds_read_b32 v16, v11 offset:1088
	v_mov_b32_e32 v6, v19
	v_mad_u64_u32 v[6:7], s[0:1], v7, s2, v[6:7]
	v_mov_b32_e32 v19, v6
	v_cmp_gt_u32_e64 s[0:1], s8, v4
	v_cmp_gt_u32_e32 vcc, s9, v0
	s_and_b64 s[0:1], s[0:1], vcc
	v_lshlrev_b64 v[6:7], 1, v[18:19]
	s_and_saveexec_b64 s[20:21], s[0:1]
	s_cbranch_execz .LBB32_9
; %bb.8:                                ;   in Loop: Header=BB32_3 Depth=1
	v_mov_b32_e32 v0, s17
	v_add_co_u32_e64 v18, s[0:1], s16, v6
	v_addc_co_u32_e64 v19, s[0:1], v0, v7, s[0:1]
	v_mov_b32_e32 v0, s5
	v_add_co_u32_e64 v20, s[0:1], s4, v18
	v_addc_co_u32_e64 v21, s[0:1], v19, v0, s[0:1]
	s_waitcnt lgkmcnt(1)
	global_store_short v[18:19], v5, off
	s_waitcnt lgkmcnt(0)
	global_store_short v[20:21], v16, off
.LBB32_9:                               ;   in Loop: Header=BB32_3 Depth=1
	s_or_b64 exec, exec, s[20:21]
	v_or_b32_e32 v0, 16, v4
	v_cmp_gt_u32_e64 s[0:1], s8, v0
	s_and_b64 s[20:21], s[0:1], vcc
	s_and_saveexec_b64 s[0:1], s[20:21]
	s_cbranch_execz .LBB32_2
; %bb.10:                               ;   in Loop: Header=BB32_3 Depth=1
	v_mov_b32_e32 v0, s17
	v_add_co_u32_e32 v6, vcc, s16, v6
	v_addc_co_u32_e32 v7, vcc, v0, v7, vcc
	v_mov_b32_e32 v0, s5
	v_add_co_u32_e32 v18, vcc, s4, v6
	v_addc_co_u32_e32 v19, vcc, v7, v0, vcc
	s_waitcnt lgkmcnt(1)
	global_store_short_d16_hi v[6:7], v5, off offset:32
	s_waitcnt lgkmcnt(0)
	global_store_short_d16_hi v[18:19], v16, off offset:32
	s_branch .LBB32_2
.LBB32_11:
	s_endpgm
	.section	.rodata,"a",@progbits
	.p2align	6, 0x0
	.amdhsa_kernel batched_transpose_32x32_pack_2x2_ediv_2x1_half
		.amdhsa_group_segment_fixed_size 2176
		.amdhsa_private_segment_fixed_size 0
		.amdhsa_kernarg_size 48
		.amdhsa_user_sgpr_count 6
		.amdhsa_user_sgpr_private_segment_buffer 1
		.amdhsa_user_sgpr_dispatch_ptr 0
		.amdhsa_user_sgpr_queue_ptr 0
		.amdhsa_user_sgpr_kernarg_segment_ptr 1
		.amdhsa_user_sgpr_dispatch_id 0
		.amdhsa_user_sgpr_flat_scratch_init 0
		.amdhsa_user_sgpr_kernarg_preload_length 0
		.amdhsa_user_sgpr_kernarg_preload_offset 0
		.amdhsa_user_sgpr_private_segment_size 0
		.amdhsa_uses_dynamic_stack 0
		.amdhsa_system_sgpr_private_segment_wavefront_offset 0
		.amdhsa_system_sgpr_workgroup_id_x 1
		.amdhsa_system_sgpr_workgroup_id_y 0
		.amdhsa_system_sgpr_workgroup_id_z 0
		.amdhsa_system_sgpr_workgroup_info 0
		.amdhsa_system_vgpr_workitem_id 0
		.amdhsa_next_free_vgpr 22
		.amdhsa_next_free_sgpr 32
		.amdhsa_accum_offset 24
		.amdhsa_reserve_vcc 1
		.amdhsa_reserve_flat_scratch 0
		.amdhsa_float_round_mode_32 0
		.amdhsa_float_round_mode_16_64 0
		.amdhsa_float_denorm_mode_32 3
		.amdhsa_float_denorm_mode_16_64 3
		.amdhsa_dx10_clamp 1
		.amdhsa_ieee_mode 1
		.amdhsa_fp16_overflow 0
		.amdhsa_tg_split 0
		.amdhsa_exception_fp_ieee_invalid_op 0
		.amdhsa_exception_fp_denorm_src 0
		.amdhsa_exception_fp_ieee_div_zero 0
		.amdhsa_exception_fp_ieee_overflow 0
		.amdhsa_exception_fp_ieee_underflow 0
		.amdhsa_exception_fp_ieee_inexact 0
		.amdhsa_exception_int_div_zero 0
	.end_amdhsa_kernel
	.text
.Lfunc_end32:
	.size	batched_transpose_32x32_pack_2x2_ediv_2x1_half, .Lfunc_end32-batched_transpose_32x32_pack_2x2_ediv_2x1_half
                                        ; -- End function
	.section	.AMDGPU.csdata,"",@progbits
; Kernel info:
; codeLenInByte = 724
; NumSgprs: 36
; NumVgprs: 22
; NumAgprs: 0
; TotalNumVgprs: 22
; ScratchSize: 0
; MemoryBound: 0
; FloatMode: 240
; IeeeMode: 1
; LDSByteSize: 2176 bytes/workgroup (compile time only)
; SGPRBlocks: 4
; VGPRBlocks: 2
; NumSGPRsForWavesPerEU: 36
; NumVGPRsForWavesPerEU: 22
; AccumOffset: 24
; Occupancy: 8
; WaveLimiterHint : 0
; COMPUTE_PGM_RSRC2:SCRATCH_EN: 0
; COMPUTE_PGM_RSRC2:USER_SGPR: 6
; COMPUTE_PGM_RSRC2:TRAP_HANDLER: 0
; COMPUTE_PGM_RSRC2:TGID_X_EN: 1
; COMPUTE_PGM_RSRC2:TGID_Y_EN: 0
; COMPUTE_PGM_RSRC2:TGID_Z_EN: 0
; COMPUTE_PGM_RSRC2:TIDIG_COMP_CNT: 0
; COMPUTE_PGM_RSRC3_GFX90A:ACCUM_OFFSET: 5
; COMPUTE_PGM_RSRC3_GFX90A:TG_SPLIT: 0
	.text
	.protected	batched_transpose_32x32_pack_2x2_ediv_1x1_half ; -- Begin function batched_transpose_32x32_pack_2x2_ediv_1x1_half
	.globl	batched_transpose_32x32_pack_2x2_ediv_1x1_half
	.p2align	8
	.type	batched_transpose_32x32_pack_2x2_ediv_1x1_half,@function
batched_transpose_32x32_pack_2x2_ediv_1x1_half: ; @batched_transpose_32x32_pack_2x2_ediv_1x1_half
; %bb.0:
	s_load_dwordx8 s[8:15], s[4:5], 0x10
	s_waitcnt lgkmcnt(0)
	s_cmp_ge_u32 s6, s11
	s_cbranch_scc1 .LBB33_19
; %bb.1:
	s_load_dwordx4 s[16:19], s[4:5], 0x0
	s_add_i32 s0, s8, 31
	s_lshr_b32 s7, s0, 5
	s_mov_b32 s1, 0
	s_lshl_b32 s0, s9, 4
	s_add_i32 s4, s9, 31
	s_lshl_b64 s[2:3], s[0:1], 1
	s_waitcnt lgkmcnt(0)
	s_add_u32 s21, s18, s2
	s_addc_u32 s22, s19, s3
	s_lshl_b32 s0, s8, 4
	s_lshl_b64 s[0:1], s[0:1], 1
	s_add_u32 s23, s16, s0
	s_addc_u32 s24, s17, s1
	s_add_u32 s25, s18, 32
	s_addc_u32 s26, s19, 0
	;; [unrolled: 2-line block ×3, first 2 shown]
	s_add_u32 s29, s16, 32
	v_and_b32_e32 v8, 15, v0
	s_addc_u32 s30, s17, 0
	v_lshrrev_b32_e32 v9, 4, v0
	v_mul_u32_u24_e32 v0, 17, v8
	s_add_u32 s31, s23, 32
	v_add_lshl_u32 v10, v0, v9, 2
	v_mul_u32_u24_e32 v0, 17, v9
	s_addc_u32 s33, s24, 0
	s_andn2_b32 s4, s4, 31
	s_mov_b32 s20, s9
	v_add_lshl_u32 v11, v0, v8, 2
	s_sub_i32 s34, 0, s4
	s_lshl_b32 s35, s6, 5
	s_lshl_b32 s36, s10, 5
	v_mov_b32_e32 v12, s8
	s_mov_b32 s37, 0xffff
	s_mov_b32 s38, 0x5040100
	;; [unrolled: 1-line block ×4, first 2 shown]
	v_mov_b32_e32 v13, s9
	v_mov_b32_e32 v1, 0
                                        ; implicit-def: $vgpr2_vgpr3
	s_branch .LBB33_3
.LBB33_2:                               ;   in Loop: Header=BB33_3 Depth=1
	s_or_b64 exec, exec, s[0:1]
	s_add_i32 s6, s6, s10
	s_add_i32 s35, s35, s36
	s_cmp_lt_u32 s6, s11
	s_cbranch_scc0 .LBB33_19
.LBB33_3:                               ; =>This Inner Loop Header: Depth=1
	s_mul_hi_u32 s0, s14, s6
	s_add_i32 s0, s6, s0
	s_lshr_b32 s0, s0, s15
	s_mul_hi_u32 s1, s0, s12
	s_add_i32 s1, s0, s1
	s_lshr_b32 s41, s1, s13
	s_mul_i32 s1, s41, s7
	s_sub_i32 s1, s0, s1
	s_mul_i32 s42, s34, s0
	s_lshl_b32 s43, s1, 5
	s_add_i32 s42, s42, s35
	v_or_b32_e32 v0, s43, v9
	v_add_u32_e32 v6, s42, v8
	v_mad_u64_u32 v[4:5], s[0:1], s41, v12, v[0:1]
	s_waitcnt lgkmcnt(0)
	v_mov_b32_e32 v7, v1
	v_mad_u64_u32 v[14:15], s[0:1], v4, s20, v[6:7]
	v_mov_b32_e32 v4, v15
	v_mad_u64_u32 v[4:5], s[0:1], v5, s20, v[4:5]
	v_mov_b32_e32 v15, v4
	v_cmp_gt_u32_e64 s[2:3], s8, v0
	v_cmp_gt_u32_e32 vcc, s9, v6
	s_and_b64 s[0:1], s[2:3], vcc
	v_lshlrev_b64 v[4:5], 1, v[14:15]
	s_barrier
	s_and_saveexec_b64 s[4:5], s[0:1]
	s_cbranch_execz .LBB33_5
; %bb.4:                                ;   in Loop: Header=BB33_3 Depth=1
	v_mov_b32_e32 v7, s19
	v_add_co_u32_e64 v14, s[0:1], s18, v4
	v_addc_co_u32_e64 v15, s[0:1], v7, v5, s[0:1]
	global_load_ushort v7, v[14:15], off
	s_waitcnt vmcnt(0)
	v_bfi_b32 v2, s37, v7, v2
.LBB33_5:                               ;   in Loop: Header=BB33_3 Depth=1
	s_or_b64 exec, exec, s[4:5]
	v_add_u32_e32 v6, 16, v6
	v_cmp_gt_u32_e64 s[0:1], s9, v6
	s_and_b64 s[2:3], s[2:3], s[0:1]
	s_and_saveexec_b64 s[4:5], s[2:3]
	s_cbranch_execz .LBB33_7
; %bb.6:                                ;   in Loop: Header=BB33_3 Depth=1
	v_mov_b32_e32 v7, s26
	v_add_co_u32_e64 v6, s[2:3], s25, v4
	v_addc_co_u32_e64 v7, s[2:3], v7, v5, s[2:3]
	global_load_ushort v6, v[6:7], off
	s_waitcnt vmcnt(0)
	v_perm_b32 v2, v6, v2, s38
.LBB33_7:                               ;   in Loop: Header=BB33_3 Depth=1
	s_or_b64 exec, exec, s[4:5]
	v_add_u32_e32 v0, 16, v0
	v_cmp_gt_u32_e64 s[2:3], s8, v0
	s_and_b64 s[44:45], s[2:3], vcc
	s_and_saveexec_b64 s[4:5], s[44:45]
	s_cbranch_execz .LBB33_9
; %bb.8:                                ;   in Loop: Header=BB33_3 Depth=1
	v_mov_b32_e32 v0, s22
	v_add_co_u32_e32 v6, vcc, s21, v4
	v_addc_co_u32_e32 v7, vcc, v0, v5, vcc
	global_load_ushort v0, v[6:7], off
	s_waitcnt vmcnt(0)
	v_bfi_b32 v3, s37, v0, v3
.LBB33_9:                               ;   in Loop: Header=BB33_3 Depth=1
	s_or_b64 exec, exec, s[4:5]
	s_and_b64 s[2:3], s[2:3], s[0:1]
	s_and_saveexec_b64 s[0:1], s[2:3]
	s_cbranch_execz .LBB33_11
; %bb.10:                               ;   in Loop: Header=BB33_3 Depth=1
	v_mov_b32_e32 v0, s28
	v_add_co_u32_e32 v4, vcc, s27, v4
	v_addc_co_u32_e32 v5, vcc, v0, v5, vcc
	global_load_ushort v0, v[4:5], off
	s_waitcnt vmcnt(0)
	v_perm_b32 v3, v0, v3, s38
.LBB33_11:                              ;   in Loop: Header=BB33_3 Depth=1
	s_or_b64 exec, exec, s[0:1]
	v_perm_b32 v0, v2, v3, s39
	v_perm_b32 v4, v2, v3, s40
	ds_write_b32 v10, v0
	ds_write_b32 v10, v4 offset:1088
	v_add_u32_e32 v0, s42, v9
	v_or_b32_e32 v6, s43, v8
	v_mad_u64_u32 v[4:5], s[0:1], s41, v13, v[0:1]
	v_mov_b32_e32 v7, v1
	s_waitcnt lgkmcnt(0)
	s_barrier
	v_mad_u64_u32 v[16:17], s[0:1], v4, s8, v[6:7]
	ds_read_b32 v14, v11
	ds_read_b32 v7, v11 offset:1088
	v_mov_b32_e32 v4, v17
	v_mad_u64_u32 v[4:5], s[0:1], v5, s8, v[4:5]
	v_mov_b32_e32 v17, v4
	v_cmp_gt_u32_e32 vcc, s8, v6
	v_cmp_gt_u32_e64 s[2:3], s9, v0
	s_and_b64 s[0:1], s[2:3], vcc
	v_lshlrev_b64 v[4:5], 1, v[16:17]
	s_and_saveexec_b64 s[4:5], s[0:1]
	s_cbranch_execz .LBB33_13
; %bb.12:                               ;   in Loop: Header=BB33_3 Depth=1
	v_mov_b32_e32 v15, s17
	v_add_co_u32_e64 v16, s[0:1], s16, v4
	v_addc_co_u32_e64 v17, s[0:1], v15, v5, s[0:1]
	s_waitcnt lgkmcnt(1)
	global_store_short v[16:17], v14, off
.LBB33_13:                              ;   in Loop: Header=BB33_3 Depth=1
	s_or_b64 exec, exec, s[4:5]
	v_or_b32_e32 v6, 16, v6
	v_cmp_gt_u32_e64 s[0:1], s8, v6
	s_and_b64 s[2:3], s[2:3], s[0:1]
	s_and_saveexec_b64 s[4:5], s[2:3]
	s_cbranch_execz .LBB33_15
; %bb.14:                               ;   in Loop: Header=BB33_3 Depth=1
	v_mov_b32_e32 v6, s30
	v_add_co_u32_e64 v16, s[2:3], s29, v4
	v_addc_co_u32_e64 v17, s[2:3], v6, v5, s[2:3]
	s_waitcnt lgkmcnt(1)
	global_store_short_d16_hi v[16:17], v14, off
.LBB33_15:                              ;   in Loop: Header=BB33_3 Depth=1
	s_or_b64 exec, exec, s[4:5]
	v_add_u32_e32 v0, 16, v0
	v_cmp_gt_u32_e64 s[2:3], s9, v0
	s_and_b64 s[42:43], s[2:3], vcc
	s_and_saveexec_b64 s[4:5], s[42:43]
	s_cbranch_execz .LBB33_17
; %bb.16:                               ;   in Loop: Header=BB33_3 Depth=1
	v_mov_b32_e32 v0, s24
	s_waitcnt lgkmcnt(1)
	v_add_co_u32_e32 v14, vcc, s23, v4
	v_addc_co_u32_e32 v15, vcc, v0, v5, vcc
	s_waitcnt lgkmcnt(0)
	global_store_short v[14:15], v7, off
.LBB33_17:                              ;   in Loop: Header=BB33_3 Depth=1
	s_or_b64 exec, exec, s[4:5]
	s_and_b64 s[2:3], s[2:3], s[0:1]
	s_and_saveexec_b64 s[0:1], s[2:3]
	s_cbranch_execz .LBB33_2
; %bb.18:                               ;   in Loop: Header=BB33_3 Depth=1
	v_mov_b32_e32 v0, s33
	v_add_co_u32_e32 v4, vcc, s31, v4
	v_addc_co_u32_e32 v5, vcc, v0, v5, vcc
	s_waitcnt lgkmcnt(0)
	global_store_short_d16_hi v[4:5], v7, off
	s_branch .LBB33_2
.LBB33_19:
	s_endpgm
	.section	.rodata,"a",@progbits
	.p2align	6, 0x0
	.amdhsa_kernel batched_transpose_32x32_pack_2x2_ediv_1x1_half
		.amdhsa_group_segment_fixed_size 2176
		.amdhsa_private_segment_fixed_size 0
		.amdhsa_kernarg_size 48
		.amdhsa_user_sgpr_count 6
		.amdhsa_user_sgpr_private_segment_buffer 1
		.amdhsa_user_sgpr_dispatch_ptr 0
		.amdhsa_user_sgpr_queue_ptr 0
		.amdhsa_user_sgpr_kernarg_segment_ptr 1
		.amdhsa_user_sgpr_dispatch_id 0
		.amdhsa_user_sgpr_flat_scratch_init 0
		.amdhsa_user_sgpr_kernarg_preload_length 0
		.amdhsa_user_sgpr_kernarg_preload_offset 0
		.amdhsa_user_sgpr_private_segment_size 0
		.amdhsa_uses_dynamic_stack 0
		.amdhsa_system_sgpr_private_segment_wavefront_offset 0
		.amdhsa_system_sgpr_workgroup_id_x 1
		.amdhsa_system_sgpr_workgroup_id_y 0
		.amdhsa_system_sgpr_workgroup_id_z 0
		.amdhsa_system_sgpr_workgroup_info 0
		.amdhsa_system_vgpr_workitem_id 0
		.amdhsa_next_free_vgpr 18
		.amdhsa_next_free_sgpr 46
		.amdhsa_accum_offset 20
		.amdhsa_reserve_vcc 1
		.amdhsa_reserve_flat_scratch 0
		.amdhsa_float_round_mode_32 0
		.amdhsa_float_round_mode_16_64 0
		.amdhsa_float_denorm_mode_32 3
		.amdhsa_float_denorm_mode_16_64 3
		.amdhsa_dx10_clamp 1
		.amdhsa_ieee_mode 1
		.amdhsa_fp16_overflow 0
		.amdhsa_tg_split 0
		.amdhsa_exception_fp_ieee_invalid_op 0
		.amdhsa_exception_fp_denorm_src 0
		.amdhsa_exception_fp_ieee_div_zero 0
		.amdhsa_exception_fp_ieee_overflow 0
		.amdhsa_exception_fp_ieee_underflow 0
		.amdhsa_exception_fp_ieee_inexact 0
		.amdhsa_exception_int_div_zero 0
	.end_amdhsa_kernel
	.text
.Lfunc_end33:
	.size	batched_transpose_32x32_pack_2x2_ediv_1x1_half, .Lfunc_end33-batched_transpose_32x32_pack_2x2_ediv_1x1_half
                                        ; -- End function
	.section	.AMDGPU.csdata,"",@progbits
; Kernel info:
; codeLenInByte = 908
; NumSgprs: 50
; NumVgprs: 18
; NumAgprs: 0
; TotalNumVgprs: 18
; ScratchSize: 0
; MemoryBound: 0
; FloatMode: 240
; IeeeMode: 1
; LDSByteSize: 2176 bytes/workgroup (compile time only)
; SGPRBlocks: 6
; VGPRBlocks: 2
; NumSGPRsForWavesPerEU: 50
; NumVGPRsForWavesPerEU: 18
; AccumOffset: 20
; Occupancy: 8
; WaveLimiterHint : 0
; COMPUTE_PGM_RSRC2:SCRATCH_EN: 0
; COMPUTE_PGM_RSRC2:USER_SGPR: 6
; COMPUTE_PGM_RSRC2:TRAP_HANDLER: 0
; COMPUTE_PGM_RSRC2:TGID_X_EN: 1
; COMPUTE_PGM_RSRC2:TGID_Y_EN: 0
; COMPUTE_PGM_RSRC2:TGID_Z_EN: 0
; COMPUTE_PGM_RSRC2:TIDIG_COMP_CNT: 0
; COMPUTE_PGM_RSRC3_GFX90A:ACCUM_OFFSET: 4
; COMPUTE_PGM_RSRC3_GFX90A:TG_SPLIT: 0
	.text
	.protected	batched_transpose_64x32_pack_4x2_ediv_4x2_half ; -- Begin function batched_transpose_64x32_pack_4x2_ediv_4x2_half
	.globl	batched_transpose_64x32_pack_4x2_ediv_4x2_half
	.p2align	8
	.type	batched_transpose_64x32_pack_4x2_ediv_4x2_half,@function
batched_transpose_64x32_pack_4x2_ediv_4x2_half: ; @batched_transpose_64x32_pack_4x2_ediv_4x2_half
; %bb.0:
	s_load_dwordx8 s[8:15], s[4:5], 0x10
	s_waitcnt lgkmcnt(0)
	s_cmp_ge_u32 s6, s11
	s_cbranch_scc1 .LBB34_7
; %bb.1:
	s_load_dwordx4 s[16:19], s[4:5], 0x0
	s_add_i32 s20, s9, 63
	v_and_b32_e32 v4, 15, v0
	s_lshr_b32 s2, s8, 1
	s_add_i32 s0, s8, 31
	s_mov_b32 s5, 0
	v_lshrrev_b32_e32 v0, 4, v0
	v_mul_u32_u24_e32 v1, 17, v4
	s_and_b32 s21, s20, 0xffffffc0
	s_lshr_b32 s20, s20, 2
	s_lshr_b32 s4, s9, 2
	;; [unrolled: 1-line block ×3, first 2 shown]
	v_lshlrev_b32_e32 v5, 1, v0
	v_add_lshl_u32 v6, v1, v0, 2
	v_lshlrev_b32_e32 v1, 2, v0
	v_mul_u32_u24_e32 v0, 17, v0
	s_mov_b32 s3, s5
	s_and_b32 s0, s8, -2
	s_mov_b32 s1, s5
	s_mul_i32 s26, s2, 3
	s_mov_b32 s27, s5
	s_and_b32 s20, s20, 0x3ffffff0
	v_add_lshl_u32 v7, v0, v4, 2
	s_mov_b32 s28, s9
	s_sub_i32 s29, 0, s21
	v_lshl_or_b32 v8, s6, 6, v1
	s_lshl_b32 s30, s10, 6
	s_sub_i32 s31, 0, s20
	v_lshl_or_b32 v9, s6, 4, v4
	s_lshl_b32 s33, s10, 4
	s_lshl_b64 s[20:21], s[4:5], 3
	s_mov_b32 s5, 0xffff0000
	s_mov_b32 s34, 0x3020706
	s_lshl_b64 s[22:23], s[2:3], 2
	s_lshl_b64 s[24:25], s[0:1], 2
	s_lshl_b64 s[26:27], s[26:27], 2
	v_mov_b32_e32 v1, 0
	s_branch .LBB34_3
.LBB34_2:                               ;   in Loop: Header=BB34_3 Depth=1
	s_or_b64 exec, exec, s[0:1]
	s_add_i32 s6, s6, s10
	v_add_u32_e32 v8, s30, v8
	s_cmp_lt_u32 s6, s11
	v_add_u32_e32 v9, s33, v9
	s_cbranch_scc0 .LBB34_7
.LBB34_3:                               ; =>This Inner Loop Header: Depth=1
	s_mul_hi_u32 s0, s14, s6
	s_add_i32 s0, s6, s0
	s_lshr_b32 s35, s0, s15
	s_mul_hi_u32 s0, s35, s12
	s_add_i32 s0, s35, s0
	s_lshr_b32 s3, s0, s13
	s_mul_i32 s0, s3, s7
	s_sub_i32 s36, s35, s0
	s_mul_i32 s0, s31, s35
	v_add_u32_e32 v2, s0, v9
	v_lshl_or_b32 v0, s36, 5, v5
	v_cmp_gt_u32_e32 vcc, s8, v0
	v_cmp_gt_u32_e64 s[0:1], s4, v2
	s_and_b64 s[38:39], vcc, s[0:1]
	s_waitcnt lgkmcnt(0)
	s_barrier
	s_and_saveexec_b64 s[0:1], s[38:39]
	s_cbranch_execz .LBB34_5
; %bb.4:                                ;   in Loop: Header=BB34_3 Depth=1
	v_mov_b32_e32 v3, s8
	v_mad_u64_u32 v[10:11], s[38:39], s3, v3, v[0:1]
	v_mad_u64_u32 v[12:13], s[38:39], v10, s4, 0
	v_mov_b32_e32 v0, v13
	v_mad_u64_u32 v[10:11], s[38:39], v11, s4, v[0:1]
	v_mov_b32_e32 v13, v10
	v_lshlrev_b64 v[10:11], 3, v[12:13]
	v_mov_b32_e32 v3, v1
	v_mov_b32_e32 v0, s19
	v_add_co_u32_e32 v10, vcc, s18, v10
	v_addc_co_u32_e32 v0, vcc, v0, v11, vcc
	v_lshlrev_b64 v[2:3], 3, v[2:3]
	v_add_co_u32_e32 v2, vcc, v10, v2
	v_addc_co_u32_e32 v3, vcc, v0, v3, vcc
	global_load_dwordx2 v[10:11], v[2:3], off
	v_mov_b32_e32 v0, s21
	v_add_co_u32_e32 v2, vcc, s20, v2
	v_addc_co_u32_e32 v3, vcc, v3, v0, vcc
	global_load_dwordx2 v[2:3], v[2:3], off
	s_waitcnt vmcnt(1)
	v_and_b32_e32 v0, 0xffff, v10
	v_lshrrev_b32_e32 v10, 16, v10
	v_and_b32_e32 v12, 0xffff, v11
	s_waitcnt vmcnt(0)
	v_lshl_or_b32 v0, v2, 16, v0
	v_and_or_b32 v2, v2, s5, v10
	v_lshl_or_b32 v10, v3, 16, v12
	v_perm_b32 v3, v11, v3, s34
	ds_write_b32 v6, v0
	ds_write_b32 v6, v2 offset:1088
	ds_write_b32 v6, v10 offset:2176
	;; [unrolled: 1-line block ×3, first 2 shown]
.LBB34_5:                               ;   in Loop: Header=BB34_3 Depth=1
	s_or_b64 exec, exec, s[0:1]
	s_mul_i32 s0, s29, s35
	v_lshl_or_b32 v2, s36, 4, v4
	v_add_u32_e32 v0, s0, v8
	v_cmp_gt_u32_e32 vcc, s2, v2
	v_cmp_gt_u32_e64 s[0:1], s9, v0
	s_and_b64 s[36:37], vcc, s[0:1]
	s_waitcnt lgkmcnt(0)
	s_barrier
	s_and_saveexec_b64 s[0:1], s[36:37]
	s_cbranch_execz .LBB34_2
; %bb.6:                                ;   in Loop: Header=BB34_3 Depth=1
	v_mov_b32_e32 v3, s28
	v_mad_u64_u32 v[10:11], s[36:37], s3, v3, v[0:1]
	v_mad_u64_u32 v[12:13], s[36:37], v10, s2, 0
	v_mov_b32_e32 v0, v13
	v_mad_u64_u32 v[10:11], s[36:37], v11, s2, v[0:1]
	v_mov_b32_e32 v13, v10
	v_lshlrev_b64 v[10:11], 2, v[12:13]
	v_mov_b32_e32 v3, v1
	v_mov_b32_e32 v0, s17
	v_add_co_u32_e32 v10, vcc, s16, v10
	v_addc_co_u32_e32 v0, vcc, v0, v11, vcc
	v_lshlrev_b64 v[2:3], 2, v[2:3]
	v_add_co_u32_e32 v2, vcc, v10, v2
	ds_read_b32 v14, v7
	ds_read_b32 v15, v7 offset:1088
	ds_read_b32 v16, v7 offset:2176
	;; [unrolled: 1-line block ×3, first 2 shown]
	v_addc_co_u32_e32 v3, vcc, v0, v3, vcc
	v_mov_b32_e32 v0, s23
	v_add_co_u32_e32 v10, vcc, s22, v2
	v_addc_co_u32_e32 v11, vcc, v3, v0, vcc
	s_waitcnt lgkmcnt(3)
	global_store_dword v[2:3], v14, off
	s_waitcnt lgkmcnt(2)
	global_store_dword v[10:11], v15, off
	v_mov_b32_e32 v0, s25
	v_add_co_u32_e32 v10, vcc, s24, v2
	v_addc_co_u32_e32 v11, vcc, v3, v0, vcc
	v_mov_b32_e32 v0, s27
	v_add_co_u32_e32 v2, vcc, s26, v2
	v_addc_co_u32_e32 v3, vcc, v3, v0, vcc
	s_waitcnt lgkmcnt(1)
	global_store_dword v[10:11], v16, off
	s_waitcnt lgkmcnt(0)
	global_store_dword v[2:3], v17, off
	s_branch .LBB34_2
.LBB34_7:
	s_endpgm
	.section	.rodata,"a",@progbits
	.p2align	6, 0x0
	.amdhsa_kernel batched_transpose_64x32_pack_4x2_ediv_4x2_half
		.amdhsa_group_segment_fixed_size 4352
		.amdhsa_private_segment_fixed_size 0
		.amdhsa_kernarg_size 48
		.amdhsa_user_sgpr_count 6
		.amdhsa_user_sgpr_private_segment_buffer 1
		.amdhsa_user_sgpr_dispatch_ptr 0
		.amdhsa_user_sgpr_queue_ptr 0
		.amdhsa_user_sgpr_kernarg_segment_ptr 1
		.amdhsa_user_sgpr_dispatch_id 0
		.amdhsa_user_sgpr_flat_scratch_init 0
		.amdhsa_user_sgpr_kernarg_preload_length 0
		.amdhsa_user_sgpr_kernarg_preload_offset 0
		.amdhsa_user_sgpr_private_segment_size 0
		.amdhsa_uses_dynamic_stack 0
		.amdhsa_system_sgpr_private_segment_wavefront_offset 0
		.amdhsa_system_sgpr_workgroup_id_x 1
		.amdhsa_system_sgpr_workgroup_id_y 0
		.amdhsa_system_sgpr_workgroup_id_z 0
		.amdhsa_system_sgpr_workgroup_info 0
		.amdhsa_system_vgpr_workitem_id 0
		.amdhsa_next_free_vgpr 18
		.amdhsa_next_free_sgpr 40
		.amdhsa_accum_offset 20
		.amdhsa_reserve_vcc 1
		.amdhsa_reserve_flat_scratch 0
		.amdhsa_float_round_mode_32 0
		.amdhsa_float_round_mode_16_64 0
		.amdhsa_float_denorm_mode_32 3
		.amdhsa_float_denorm_mode_16_64 3
		.amdhsa_dx10_clamp 1
		.amdhsa_ieee_mode 1
		.amdhsa_fp16_overflow 0
		.amdhsa_tg_split 0
		.amdhsa_exception_fp_ieee_invalid_op 0
		.amdhsa_exception_fp_denorm_src 0
		.amdhsa_exception_fp_ieee_div_zero 0
		.amdhsa_exception_fp_ieee_overflow 0
		.amdhsa_exception_fp_ieee_underflow 0
		.amdhsa_exception_fp_ieee_inexact 0
		.amdhsa_exception_int_div_zero 0
	.end_amdhsa_kernel
	.text
.Lfunc_end34:
	.size	batched_transpose_64x32_pack_4x2_ediv_4x2_half, .Lfunc_end34-batched_transpose_64x32_pack_4x2_ediv_4x2_half
                                        ; -- End function
	.section	.AMDGPU.csdata,"",@progbits
; Kernel info:
; codeLenInByte = 760
; NumSgprs: 44
; NumVgprs: 18
; NumAgprs: 0
; TotalNumVgprs: 18
; ScratchSize: 0
; MemoryBound: 0
; FloatMode: 240
; IeeeMode: 1
; LDSByteSize: 4352 bytes/workgroup (compile time only)
; SGPRBlocks: 5
; VGPRBlocks: 2
; NumSGPRsForWavesPerEU: 44
; NumVGPRsForWavesPerEU: 18
; AccumOffset: 20
; Occupancy: 8
; WaveLimiterHint : 0
; COMPUTE_PGM_RSRC2:SCRATCH_EN: 0
; COMPUTE_PGM_RSRC2:USER_SGPR: 6
; COMPUTE_PGM_RSRC2:TRAP_HANDLER: 0
; COMPUTE_PGM_RSRC2:TGID_X_EN: 1
; COMPUTE_PGM_RSRC2:TGID_Y_EN: 0
; COMPUTE_PGM_RSRC2:TGID_Z_EN: 0
; COMPUTE_PGM_RSRC2:TIDIG_COMP_CNT: 0
; COMPUTE_PGM_RSRC3_GFX90A:ACCUM_OFFSET: 4
; COMPUTE_PGM_RSRC3_GFX90A:TG_SPLIT: 0
	.text
	.protected	batched_transpose_64x32_pack_4x2_ediv_2x2_half ; -- Begin function batched_transpose_64x32_pack_4x2_ediv_2x2_half
	.globl	batched_transpose_64x32_pack_4x2_ediv_2x2_half
	.p2align	8
	.type	batched_transpose_64x32_pack_4x2_ediv_2x2_half,@function
batched_transpose_64x32_pack_4x2_ediv_2x2_half: ; @batched_transpose_64x32_pack_4x2_ediv_2x2_half
; %bb.0:
	s_load_dwordx8 s[8:15], s[4:5], 0x10
	s_waitcnt lgkmcnt(0)
	s_cmp_ge_u32 s6, s11
	s_cbranch_scc1 .LBB35_11
; %bb.1:
	s_load_dwordx4 s[16:19], s[4:5], 0x0
	s_add_i32 s20, s9, 63
	v_and_b32_e32 v10, 15, v0
	s_lshr_b32 s2, s8, 1
	s_add_i32 s0, s8, 31
	s_mov_b32 s5, 0
	v_lshrrev_b32_e32 v0, 4, v0
	v_mul_u32_u24_e32 v1, 17, v10
	s_and_b32 s21, s20, 0xffffffc0
	s_lshr_b32 s20, s20, 1
	s_lshr_b32 s4, s9, 1
	;; [unrolled: 1-line block ×3, first 2 shown]
	v_lshlrev_b32_e32 v11, 1, v0
	v_add_lshl_u32 v12, v1, v0, 4
	s_mov_b32 s3, s5
	v_mul_u32_u24_e32 v0, 17, v0
	s_lshl_b32 s0, s2, 5
	s_mov_b32 s1, s5
	s_mul_i32 s22, s2, 33
	s_mov_b32 s23, s5
	s_and_b32 s20, s20, 0x7fffffe0
	v_add_lshl_u32 v13, v0, v10, 4
	s_sub_i32 s30, 0, s21
	v_lshl_or_b32 v14, s6, 6, v11
	s_lshl_b32 s31, s10, 6
	s_sub_i32 s33, 0, s20
	v_lshl_or_b32 v15, s6, 5, v10
	s_lshl_b32 s34, s10, 5
	v_mov_b32_e32 v16, s8
	s_lshl_b64 s[20:21], s[4:5], 2
	s_mov_b32 s5, 0xffff
	s_mov_b32 s35, 0xffff0000
	v_mov_b32_e32 v17, s9
	s_lshl_b64 s[22:23], s[22:23], 2
	s_lshl_b64 s[24:25], s[0:1], 2
	v_mov_b32_e32 v5, 0
	s_lshl_b64 s[26:27], s[2:3], 2
                                        ; implicit-def: $vgpr0_vgpr1_vgpr2_vgpr3
	s_branch .LBB35_3
.LBB35_2:                               ;   in Loop: Header=BB35_3 Depth=1
	s_or_b64 exec, exec, s[0:1]
	s_add_i32 s6, s6, s10
	v_add_u32_e32 v14, s31, v14
	s_cmp_lt_u32 s6, s11
	v_add_u32_e32 v15, s34, v15
	s_cbranch_scc0 .LBB35_11
.LBB35_3:                               ; =>This Inner Loop Header: Depth=1
	s_mul_hi_u32 s0, s14, s6
	s_add_i32 s0, s6, s0
	s_lshr_b32 s36, s0, s15
	s_mul_hi_u32 s0, s36, s12
	s_add_i32 s0, s36, s0
	s_lshr_b32 s3, s0, s13
	s_mul_i32 s0, s3, s7
	s_sub_i32 s37, s36, s0
	s_mul_i32 s0, s33, s36
	v_lshl_or_b32 v4, s37, 5, v11
	s_waitcnt lgkmcnt(0)
	v_add_u32_e32 v6, s0, v15
	v_mad_u64_u32 v[8:9], s[0:1], s3, v16, v[4:5]
	v_mov_b32_e32 v7, v5
	v_mad_u64_u32 v[18:19], s[0:1], v8, s4, v[6:7]
	v_mov_b32_e32 v8, v19
	;; [unrolled: 2-line block ×3, first 2 shown]
	v_cmp_gt_u32_e32 vcc, s8, v4
	v_cmp_gt_u32_e64 s[0:1], s4, v6
	s_and_b64 s[0:1], vcc, s[0:1]
	v_lshlrev_b64 v[8:9], 2, v[18:19]
	s_waitcnt lgkmcnt(0)
	s_barrier
	s_and_saveexec_b64 s[28:29], s[0:1]
	s_cbranch_execz .LBB35_5
; %bb.4:                                ;   in Loop: Header=BB35_3 Depth=1
	v_mov_b32_e32 v0, s19
	v_add_co_u32_e64 v18, s[0:1], s18, v8
	v_addc_co_u32_e64 v19, s[0:1], v0, v9, s[0:1]
	v_mov_b32_e32 v0, s21
	v_add_co_u32_e64 v20, s[0:1], s20, v18
	v_addc_co_u32_e64 v21, s[0:1], v19, v0, s[0:1]
	global_load_dword v0, v[18:19], off
	global_load_dword v1, v[20:21], off
.LBB35_5:                               ;   in Loop: Header=BB35_3 Depth=1
	s_or_b64 exec, exec, s[28:29]
	v_add_u32_e32 v4, 16, v6
	v_cmp_gt_u32_e64 s[0:1], s4, v4
	s_and_b64 s[28:29], vcc, s[0:1]
	s_and_saveexec_b64 s[0:1], s[28:29]
	s_cbranch_execz .LBB35_7
; %bb.6:                                ;   in Loop: Header=BB35_3 Depth=1
	v_mov_b32_e32 v2, s19
	v_add_co_u32_e32 v6, vcc, s18, v8
	v_addc_co_u32_e32 v7, vcc, v2, v9, vcc
	v_mov_b32_e32 v2, s21
	v_add_co_u32_e32 v8, vcc, s20, v6
	v_addc_co_u32_e32 v9, vcc, v7, v2, vcc
	global_load_dword v2, v[6:7], off offset:64
	global_load_dword v3, v[8:9], off offset:64
.LBB35_7:                               ;   in Loop: Header=BB35_3 Depth=1
	s_or_b64 exec, exec, s[0:1]
	s_waitcnt vmcnt(1)
	v_and_b32_e32 v4, 0xffff, v0
	s_waitcnt vmcnt(0)
	v_lshl_or_b32 v6, v1, 16, v4
	v_lshrrev_b32_e32 v4, 16, v0
	v_lshlrev_b32_e32 v7, 16, v3
	v_lshrrev_b32_e32 v8, 16, v2
	s_mul_i32 s0, s30, s36
	v_and_or_b32 v9, v3, s35, v8
	v_and_or_b32 v8, v2, s5, v7
	;; [unrolled: 1-line block ×3, first 2 shown]
	v_add_u32_e32 v4, s0, v14
	ds_write_b128 v12, v[6:9]
	v_lshl_or_b32 v8, s37, 4, v10
	v_mad_u64_u32 v[6:7], s[0:1], s3, v17, v[4:5]
	v_mov_b32_e32 v9, v5
	v_mad_u64_u32 v[18:19], s[0:1], v6, s2, v[8:9]
	v_mov_b32_e32 v6, v19
	v_mad_u64_u32 v[6:7], s[0:1], v7, s2, v[6:7]
	s_waitcnt lgkmcnt(0)
	s_barrier
	v_mov_b32_e32 v19, v6
	ds_read_b64 v[6:7], v13 offset:8
	v_cmp_gt_u32_e32 vcc, s2, v8
	v_cmp_gt_u32_e64 s[0:1], s9, v4
	s_and_b64 s[0:1], vcc, s[0:1]
	v_lshlrev_b64 v[8:9], 2, v[18:19]
	s_and_saveexec_b64 s[28:29], s[0:1]
	s_cbranch_execz .LBB35_9
; %bb.8:                                ;   in Loop: Header=BB35_3 Depth=1
	ds_read_b64 v[20:21], v13
	v_mov_b32_e32 v19, s17
	v_add_co_u32_e64 v18, s[0:1], s16, v8
	v_addc_co_u32_e64 v19, s[0:1], v19, v9, s[0:1]
	v_mov_b32_e32 v23, s27
	v_add_co_u32_e64 v22, s[0:1], s26, v18
	v_addc_co_u32_e64 v23, s[0:1], v19, v23, s[0:1]
	s_waitcnt lgkmcnt(0)
	global_store_dword v[18:19], v20, off
	global_store_dword v[22:23], v21, off
.LBB35_9:                               ;   in Loop: Header=BB35_3 Depth=1
	s_or_b64 exec, exec, s[28:29]
	v_add_u32_e32 v4, 32, v4
	v_cmp_gt_u32_e64 s[0:1], s9, v4
	s_and_b64 s[28:29], vcc, s[0:1]
	s_and_saveexec_b64 s[0:1], s[28:29]
	s_cbranch_execz .LBB35_2
; %bb.10:                               ;   in Loop: Header=BB35_3 Depth=1
	v_mov_b32_e32 v4, s17
	v_add_co_u32_e32 v18, vcc, s16, v8
	v_addc_co_u32_e32 v4, vcc, v4, v9, vcc
	v_mov_b32_e32 v9, s23
	v_add_co_u32_e32 v8, vcc, s22, v18
	v_addc_co_u32_e32 v9, vcc, v4, v9, vcc
	;; [unrolled: 3-line block ×3, first 2 shown]
	s_waitcnt lgkmcnt(0)
	global_store_dword v[18:19], v6, off
	global_store_dword v[8:9], v7, off
	s_branch .LBB35_2
.LBB35_11:
	s_endpgm
	.section	.rodata,"a",@progbits
	.p2align	6, 0x0
	.amdhsa_kernel batched_transpose_64x32_pack_4x2_ediv_2x2_half
		.amdhsa_group_segment_fixed_size 4352
		.amdhsa_private_segment_fixed_size 0
		.amdhsa_kernarg_size 48
		.amdhsa_user_sgpr_count 6
		.amdhsa_user_sgpr_private_segment_buffer 1
		.amdhsa_user_sgpr_dispatch_ptr 0
		.amdhsa_user_sgpr_queue_ptr 0
		.amdhsa_user_sgpr_kernarg_segment_ptr 1
		.amdhsa_user_sgpr_dispatch_id 0
		.amdhsa_user_sgpr_flat_scratch_init 0
		.amdhsa_user_sgpr_kernarg_preload_length 0
		.amdhsa_user_sgpr_kernarg_preload_offset 0
		.amdhsa_user_sgpr_private_segment_size 0
		.amdhsa_uses_dynamic_stack 0
		.amdhsa_system_sgpr_private_segment_wavefront_offset 0
		.amdhsa_system_sgpr_workgroup_id_x 1
		.amdhsa_system_sgpr_workgroup_id_y 0
		.amdhsa_system_sgpr_workgroup_id_z 0
		.amdhsa_system_sgpr_workgroup_info 0
		.amdhsa_system_vgpr_workitem_id 0
		.amdhsa_next_free_vgpr 24
		.amdhsa_next_free_sgpr 38
		.amdhsa_accum_offset 24
		.amdhsa_reserve_vcc 1
		.amdhsa_reserve_flat_scratch 0
		.amdhsa_float_round_mode_32 0
		.amdhsa_float_round_mode_16_64 0
		.amdhsa_float_denorm_mode_32 3
		.amdhsa_float_denorm_mode_16_64 3
		.amdhsa_dx10_clamp 1
		.amdhsa_ieee_mode 1
		.amdhsa_fp16_overflow 0
		.amdhsa_tg_split 0
		.amdhsa_exception_fp_ieee_invalid_op 0
		.amdhsa_exception_fp_denorm_src 0
		.amdhsa_exception_fp_ieee_div_zero 0
		.amdhsa_exception_fp_ieee_overflow 0
		.amdhsa_exception_fp_ieee_underflow 0
		.amdhsa_exception_fp_ieee_inexact 0
		.amdhsa_exception_int_div_zero 0
	.end_amdhsa_kernel
	.text
.Lfunc_end35:
	.size	batched_transpose_64x32_pack_4x2_ediv_2x2_half, .Lfunc_end35-batched_transpose_64x32_pack_4x2_ediv_2x2_half
                                        ; -- End function
	.section	.AMDGPU.csdata,"",@progbits
; Kernel info:
; codeLenInByte = 816
; NumSgprs: 42
; NumVgprs: 24
; NumAgprs: 0
; TotalNumVgprs: 24
; ScratchSize: 0
; MemoryBound: 0
; FloatMode: 240
; IeeeMode: 1
; LDSByteSize: 4352 bytes/workgroup (compile time only)
; SGPRBlocks: 5
; VGPRBlocks: 2
; NumSGPRsForWavesPerEU: 42
; NumVGPRsForWavesPerEU: 24
; AccumOffset: 24
; Occupancy: 8
; WaveLimiterHint : 0
; COMPUTE_PGM_RSRC2:SCRATCH_EN: 0
; COMPUTE_PGM_RSRC2:USER_SGPR: 6
; COMPUTE_PGM_RSRC2:TRAP_HANDLER: 0
; COMPUTE_PGM_RSRC2:TGID_X_EN: 1
; COMPUTE_PGM_RSRC2:TGID_Y_EN: 0
; COMPUTE_PGM_RSRC2:TGID_Z_EN: 0
; COMPUTE_PGM_RSRC2:TIDIG_COMP_CNT: 0
; COMPUTE_PGM_RSRC3_GFX90A:ACCUM_OFFSET: 5
; COMPUTE_PGM_RSRC3_GFX90A:TG_SPLIT: 0
	.text
	.protected	batched_transpose_64x32_pack_4x2_ediv_2x1_half ; -- Begin function batched_transpose_64x32_pack_4x2_ediv_2x1_half
	.globl	batched_transpose_64x32_pack_4x2_ediv_2x1_half
	.p2align	8
	.type	batched_transpose_64x32_pack_4x2_ediv_2x1_half,@function
batched_transpose_64x32_pack_4x2_ediv_2x1_half: ; @batched_transpose_64x32_pack_4x2_ediv_2x1_half
; %bb.0:
	s_load_dwordx8 s[8:15], s[4:5], 0x10
	s_waitcnt lgkmcnt(0)
	s_cmp_ge_u32 s6, s11
	s_cbranch_scc1 .LBB36_19
; %bb.1:
	s_load_dwordx4 s[16:19], s[4:5], 0x0
	s_lshr_b32 s7, s9, 1
	s_add_i32 s0, s8, 31
	s_mov_b32 s5, 0
	s_lshr_b32 s26, s0, 5
	s_lshl_b32 s0, s7, 4
	s_mov_b32 s1, s5
	s_add_i32 s2, s9, 63
	s_lshl_b64 s[0:1], s[0:1], 2
	s_waitcnt lgkmcnt(0)
	s_add_u32 s27, s18, s0
	s_addc_u32 s28, s19, s1
	s_lshl_b32 s20, s8, 5
	s_add_u32 s29, s18, 64
	s_addc_u32 s30, s19, 0
	s_add_u32 s31, s27, 64
	v_and_b32_e32 v12, 15, v0
	s_addc_u32 s33, s28, 0
	s_and_b32 s1, s2, 0xffffffc0
	v_lshrrev_b32_e32 v13, 4, v0
	v_mul_u32_u24_e32 v0, 17, v12
	s_sub_i32 s34, 0, s1
	s_lshr_b32 s1, s2, 1
	v_add_lshl_u32 v14, v0, v13, 4
	v_lshlrev_b32_e32 v0, 1, v13
	v_mul_u32_u24_e32 v1, 17, v13
	s_and_b32 s1, s1, 0x7fffffe0
	s_mov_b32 s4, s8
	v_add_lshl_u32 v15, v1, v12, 4
	s_mov_b32 s21, s5
	s_mul_i32 s22, s8, 33
	s_mov_b32 s23, s5
	v_lshl_or_b32 v16, s6, 6, v0
	s_lshl_b32 s35, s10, 6
	s_sub_i32 s36, 0, s1
	v_lshl_or_b32 v17, s6, 5, v12
	s_lshl_b32 s37, s10, 5
	v_mov_b32_e32 v18, s8
	s_mov_b32 s38, 0xffff
	s_mov_b32 s39, 0xffff0000
	v_mov_b32_e32 v5, 0
	v_mov_b32_e32 v19, s9
                                        ; implicit-def: $vgpr0_vgpr1_vgpr2_vgpr3
	s_branch .LBB36_3
.LBB36_2:                               ;   in Loop: Header=BB36_3 Depth=1
	s_or_b64 exec, exec, s[0:1]
	s_add_i32 s6, s6, s10
	v_add_u32_e32 v16, s35, v16
	s_cmp_lt_u32 s6, s11
	v_add_u32_e32 v17, s37, v17
	s_cbranch_scc0 .LBB36_19
.LBB36_3:                               ; =>This Inner Loop Header: Depth=1
	s_mul_hi_u32 s0, s14, s6
	s_add_i32 s0, s6, s0
	s_lshr_b32 s41, s0, s15
	s_mul_hi_u32 s0, s41, s12
	s_add_i32 s0, s41, s0
	s_lshr_b32 s40, s0, s13
	s_mul_i32 s0, s40, s26
	s_sub_i32 s0, s41, s0
	s_lshl_b32 s42, s0, 5
	s_mul_i32 s1, s36, s41
	v_or_b32_e32 v4, s42, v13
	v_add_u32_e32 v8, s1, v17
	s_waitcnt lgkmcnt(1)
	v_mad_u64_u32 v[6:7], s[0:1], s40, v18, v[4:5]
	v_mov_b32_e32 v9, v5
	s_waitcnt lgkmcnt(0)
	v_mad_u64_u32 v[10:11], s[0:1], v6, s7, v[8:9]
	v_mov_b32_e32 v6, v11
	v_mad_u64_u32 v[6:7], s[0:1], v7, s7, v[6:7]
	v_mov_b32_e32 v11, v6
	v_cmp_gt_u32_e64 s[2:3], s8, v4
	v_cmp_gt_u32_e32 vcc, s7, v8
	s_and_b64 s[0:1], s[2:3], vcc
	v_lshlrev_b64 v[6:7], 2, v[10:11]
	s_barrier
	s_and_saveexec_b64 s[24:25], s[0:1]
	s_cbranch_execz .LBB36_5
; %bb.4:                                ;   in Loop: Header=BB36_3 Depth=1
	v_mov_b32_e32 v0, s19
	v_add_co_u32_e64 v10, s[0:1], s18, v6
	v_addc_co_u32_e64 v11, s[0:1], v0, v7, s[0:1]
	global_load_dword v0, v[10:11], off
.LBB36_5:                               ;   in Loop: Header=BB36_3 Depth=1
	s_or_b64 exec, exec, s[24:25]
	v_add_u32_e32 v8, 16, v8
	v_cmp_gt_u32_e64 s[0:1], s7, v8
	s_and_b64 s[2:3], s[2:3], s[0:1]
	s_and_saveexec_b64 s[24:25], s[2:3]
	s_cbranch_execz .LBB36_7
; %bb.6:                                ;   in Loop: Header=BB36_3 Depth=1
	v_mov_b32_e32 v2, s30
	v_add_co_u32_e64 v8, s[2:3], s29, v6
	v_addc_co_u32_e64 v9, s[2:3], v2, v7, s[2:3]
	global_load_dword v2, v[8:9], off
.LBB36_7:                               ;   in Loop: Header=BB36_3 Depth=1
	s_or_b64 exec, exec, s[24:25]
	v_add_u32_e32 v4, 16, v4
	v_cmp_gt_u32_e64 s[2:3], s8, v4
	s_and_b64 s[44:45], s[2:3], vcc
	s_and_saveexec_b64 s[24:25], s[44:45]
	s_cbranch_execz .LBB36_9
; %bb.8:                                ;   in Loop: Header=BB36_3 Depth=1
	v_mov_b32_e32 v1, s28
	v_add_co_u32_e32 v8, vcc, s27, v6
	v_addc_co_u32_e32 v9, vcc, v1, v7, vcc
	global_load_dword v1, v[8:9], off
.LBB36_9:                               ;   in Loop: Header=BB36_3 Depth=1
	s_or_b64 exec, exec, s[24:25]
	s_and_b64 s[2:3], s[2:3], s[0:1]
	s_and_saveexec_b64 s[0:1], s[2:3]
	s_cbranch_execz .LBB36_11
; %bb.10:                               ;   in Loop: Header=BB36_3 Depth=1
	v_mov_b32_e32 v3, s33
	v_add_co_u32_e32 v6, vcc, s31, v6
	v_addc_co_u32_e32 v7, vcc, v3, v7, vcc
	global_load_dword v3, v[6:7], off
.LBB36_11:                              ;   in Loop: Header=BB36_3 Depth=1
	s_or_b64 exec, exec, s[0:1]
	s_waitcnt vmcnt(0)
	v_and_b32_e32 v4, 0xffff, v0
	v_lshl_or_b32 v6, v1, 16, v4
	v_lshrrev_b32_e32 v4, 16, v0
	v_lshlrev_b32_e32 v7, 16, v3
	v_lshrrev_b32_e32 v8, 16, v2
	s_mul_i32 s0, s34, s41
	v_and_or_b32 v9, v3, s39, v8
	v_and_or_b32 v8, v2, s38, v7
	;; [unrolled: 1-line block ×3, first 2 shown]
	v_add_u32_e32 v4, s0, v16
	ds_write_b128 v14, v[6:9]
	v_or_b32_e32 v10, s42, v12
	v_mad_u64_u32 v[6:7], s[0:1], s40, v19, v[4:5]
	v_mov_b32_e32 v11, v5
	v_mad_u64_u32 v[8:9], s[0:1], v6, s4, v[10:11]
	v_mov_b32_e32 v6, v9
	v_mad_u64_u32 v[6:7], s[0:1], v7, s4, v[6:7]
	s_waitcnt lgkmcnt(0)
	s_barrier
	v_mov_b32_e32 v9, v6
	ds_read_u16 v20, v15 offset:2
	ds_read_b64 v[6:7], v15 offset:6
	ds_read_u16 v11, v15 offset:14
	v_cmp_gt_u32_e32 vcc, s8, v10
	v_cmp_gt_u32_e64 s[2:3], s9, v4
	s_and_b64 s[0:1], vcc, s[2:3]
	v_lshlrev_b64 v[8:9], 1, v[8:9]
	s_and_saveexec_b64 s[24:25], s[0:1]
	s_cbranch_execz .LBB36_13
; %bb.12:                               ;   in Loop: Header=BB36_3 Depth=1
	ds_read_u16 v26, v15
	ds_read_u16 v27, v15 offset:4
	v_mov_b32_e32 v21, s17
	v_add_co_u32_e64 v22, s[0:1], s16, v8
	v_addc_co_u32_e64 v23, s[0:1], v21, v9, s[0:1]
	s_lshl_b64 s[0:1], s[4:5], 1
	v_mov_b32_e32 v21, s1
	v_add_co_u32_e64 v24, s[0:1], s0, v22
	v_addc_co_u32_e64 v25, s[0:1], v23, v21, s[0:1]
	s_waitcnt lgkmcnt(1)
	global_store_short v[22:23], v26, off
	s_waitcnt lgkmcnt(0)
	global_store_short v[24:25], v27, off
.LBB36_13:                              ;   in Loop: Header=BB36_3 Depth=1
	s_or_b64 exec, exec, s[24:25]
	v_or_b32_e32 v10, 16, v10
	v_cmp_gt_u32_e64 s[0:1], s8, v10
	s_and_b64 s[2:3], s[0:1], s[2:3]
	s_and_saveexec_b64 s[24:25], s[2:3]
	s_cbranch_execz .LBB36_15
; %bb.14:                               ;   in Loop: Header=BB36_3 Depth=1
	v_mov_b32_e32 v10, s17
	v_add_co_u32_e64 v22, s[2:3], s16, v8
	v_addc_co_u32_e64 v23, s[2:3], v10, v9, s[2:3]
	s_lshl_b64 s[2:3], s[4:5], 1
	v_mov_b32_e32 v10, s3
	v_add_co_u32_e64 v24, s[2:3], s2, v22
	v_addc_co_u32_e64 v25, s[2:3], v23, v10, s[2:3]
	s_waitcnt lgkmcnt(2)
	global_store_short v[22:23], v20, off offset:32
	s_waitcnt lgkmcnt(1)
	global_store_short v[24:25], v6, off offset:32
.LBB36_15:                              ;   in Loop: Header=BB36_3 Depth=1
	s_or_b64 exec, exec, s[24:25]
	v_add_u32_e32 v4, 32, v4
	v_cmp_gt_u32_e64 s[2:3], s9, v4
	s_and_b64 s[40:41], vcc, s[2:3]
	s_and_saveexec_b64 s[24:25], s[40:41]
	s_cbranch_execz .LBB36_17
; %bb.16:                               ;   in Loop: Header=BB36_3 Depth=1
	v_mov_b32_e32 v4, s17
	v_add_co_u32_e32 v10, vcc, s16, v8
	v_addc_co_u32_e32 v4, vcc, v4, v9, vcc
	s_lshl_b64 s[40:41], s[22:23], 1
	v_mov_b32_e32 v21, s41
	s_waitcnt lgkmcnt(2)
	v_add_co_u32_e32 v20, vcc, s40, v10
	v_addc_co_u32_e32 v21, vcc, v4, v21, vcc
	s_lshl_b64 s[40:41], s[20:21], 1
	v_mov_b32_e32 v23, s41
	v_add_co_u32_e32 v22, vcc, s40, v10
	v_addc_co_u32_e32 v23, vcc, v4, v23, vcc
	s_waitcnt lgkmcnt(1)
	global_store_short_d16_hi v[22:23], v6, off
	global_store_short_d16_hi v[20:21], v7, off
.LBB36_17:                              ;   in Loop: Header=BB36_3 Depth=1
	s_or_b64 exec, exec, s[24:25]
	s_and_b64 s[2:3], s[0:1], s[2:3]
	s_and_saveexec_b64 s[0:1], s[2:3]
	s_cbranch_execz .LBB36_2
; %bb.18:                               ;   in Loop: Header=BB36_3 Depth=1
	v_mov_b32_e32 v4, s17
	s_waitcnt lgkmcnt(1)
	v_add_co_u32_e32 v6, vcc, s16, v8
	v_addc_co_u32_e32 v4, vcc, v4, v9, vcc
	s_lshl_b64 s[2:3], s[22:23], 1
	v_mov_b32_e32 v9, s3
	v_add_co_u32_e32 v8, vcc, s2, v6
	v_addc_co_u32_e32 v9, vcc, v4, v9, vcc
	s_lshl_b64 s[2:3], s[20:21], 1
	v_mov_b32_e32 v10, s3
	v_add_co_u32_e32 v20, vcc, s2, v6
	v_addc_co_u32_e32 v21, vcc, v4, v10, vcc
	global_store_short v[20:21], v7, off offset:32
	s_waitcnt lgkmcnt(0)
	global_store_short v[8:9], v11, off offset:32
	s_branch .LBB36_2
.LBB36_19:
	s_endpgm
	.section	.rodata,"a",@progbits
	.p2align	6, 0x0
	.amdhsa_kernel batched_transpose_64x32_pack_4x2_ediv_2x1_half
		.amdhsa_group_segment_fixed_size 4352
		.amdhsa_private_segment_fixed_size 0
		.amdhsa_kernarg_size 48
		.amdhsa_user_sgpr_count 6
		.amdhsa_user_sgpr_private_segment_buffer 1
		.amdhsa_user_sgpr_dispatch_ptr 0
		.amdhsa_user_sgpr_queue_ptr 0
		.amdhsa_user_sgpr_kernarg_segment_ptr 1
		.amdhsa_user_sgpr_dispatch_id 0
		.amdhsa_user_sgpr_flat_scratch_init 0
		.amdhsa_user_sgpr_kernarg_preload_length 0
		.amdhsa_user_sgpr_kernarg_preload_offset 0
		.amdhsa_user_sgpr_private_segment_size 0
		.amdhsa_uses_dynamic_stack 0
		.amdhsa_system_sgpr_private_segment_wavefront_offset 0
		.amdhsa_system_sgpr_workgroup_id_x 1
		.amdhsa_system_sgpr_workgroup_id_y 0
		.amdhsa_system_sgpr_workgroup_id_z 0
		.amdhsa_system_sgpr_workgroup_info 0
		.amdhsa_system_vgpr_workitem_id 0
		.amdhsa_next_free_vgpr 28
		.amdhsa_next_free_sgpr 46
		.amdhsa_accum_offset 28
		.amdhsa_reserve_vcc 1
		.amdhsa_reserve_flat_scratch 0
		.amdhsa_float_round_mode_32 0
		.amdhsa_float_round_mode_16_64 0
		.amdhsa_float_denorm_mode_32 3
		.amdhsa_float_denorm_mode_16_64 3
		.amdhsa_dx10_clamp 1
		.amdhsa_ieee_mode 1
		.amdhsa_fp16_overflow 0
		.amdhsa_tg_split 0
		.amdhsa_exception_fp_ieee_invalid_op 0
		.amdhsa_exception_fp_denorm_src 0
		.amdhsa_exception_fp_ieee_div_zero 0
		.amdhsa_exception_fp_ieee_overflow 0
		.amdhsa_exception_fp_ieee_underflow 0
		.amdhsa_exception_fp_ieee_inexact 0
		.amdhsa_exception_int_div_zero 0
	.end_amdhsa_kernel
	.text
.Lfunc_end36:
	.size	batched_transpose_64x32_pack_4x2_ediv_2x1_half, .Lfunc_end36-batched_transpose_64x32_pack_4x2_ediv_2x1_half
                                        ; -- End function
	.section	.AMDGPU.csdata,"",@progbits
; Kernel info:
; codeLenInByte = 1096
; NumSgprs: 50
; NumVgprs: 28
; NumAgprs: 0
; TotalNumVgprs: 28
; ScratchSize: 0
; MemoryBound: 0
; FloatMode: 240
; IeeeMode: 1
; LDSByteSize: 4352 bytes/workgroup (compile time only)
; SGPRBlocks: 6
; VGPRBlocks: 3
; NumSGPRsForWavesPerEU: 50
; NumVGPRsForWavesPerEU: 28
; AccumOffset: 28
; Occupancy: 8
; WaveLimiterHint : 0
; COMPUTE_PGM_RSRC2:SCRATCH_EN: 0
; COMPUTE_PGM_RSRC2:USER_SGPR: 6
; COMPUTE_PGM_RSRC2:TRAP_HANDLER: 0
; COMPUTE_PGM_RSRC2:TGID_X_EN: 1
; COMPUTE_PGM_RSRC2:TGID_Y_EN: 0
; COMPUTE_PGM_RSRC2:TGID_Z_EN: 0
; COMPUTE_PGM_RSRC2:TIDIG_COMP_CNT: 0
; COMPUTE_PGM_RSRC3_GFX90A:ACCUM_OFFSET: 6
; COMPUTE_PGM_RSRC3_GFX90A:TG_SPLIT: 0
	.text
	.protected	batched_transpose_32x64_pack_2x4_ediv_2x4_half ; -- Begin function batched_transpose_32x64_pack_2x4_ediv_2x4_half
	.globl	batched_transpose_32x64_pack_2x4_ediv_2x4_half
	.p2align	8
	.type	batched_transpose_32x64_pack_2x4_ediv_2x4_half,@function
batched_transpose_32x64_pack_2x4_ediv_2x4_half: ; @batched_transpose_32x64_pack_2x4_ediv_2x4_half
; %bb.0:
	s_load_dwordx8 s[8:15], s[4:5], 0x10
	s_waitcnt lgkmcnt(0)
	s_cmp_ge_u32 s6, s11
	s_cbranch_scc1 .LBB37_7
; %bb.1:
	s_load_dwordx4 s[16:19], s[4:5], 0x0
	s_add_i32 s20, s9, 31
	v_and_b32_e32 v4, 15, v0
	s_lshr_b32 s4, s9, 1
	s_add_i32 s0, s8, 63
	s_mov_b32 s5, 0
	v_lshrrev_b32_e32 v0, 4, v0
	v_mul_u32_u24_e32 v1, 17, v4
	s_and_b32 s21, s20, 0xffffffe0
	s_lshr_b32 s20, s20, 1
	s_lshr_b32 s2, s8, 2
	;; [unrolled: 1-line block ×3, first 2 shown]
	v_lshlrev_b32_e32 v5, 2, v0
	s_and_b32 s0, s9, -2
	s_mov_b32 s1, s5
	s_mul_i32 s24, s4, 3
	s_mov_b32 s25, s5
	v_add_lshl_u32 v6, v1, v0, 4
	v_lshlrev_b32_e32 v1, 1, v0
	v_mul_u32_u24_e32 v0, 17, v0
	s_mov_b32 s3, s5
	s_and_b32 s20, s20, 0x7ffffff0
	v_add_lshl_u32 v7, v0, v4, 4
	s_mov_b32 s28, s9
	s_sub_i32 s29, 0, s21
	v_lshl_or_b32 v8, s6, 5, v1
	s_lshl_b32 s30, s10, 5
	s_sub_i32 s31, 0, s20
	v_lshl_or_b32 v9, s6, 4, v4
	s_lshl_b32 s33, s10, 4
	s_lshl_b64 s[20:21], s[4:5], 2
	s_lshl_b64 s[22:23], s[0:1], 2
	;; [unrolled: 1-line block ×3, first 2 shown]
	s_mov_b32 s5, 0xffff0000
	s_lshl_b64 s[26:27], s[2:3], 3
	v_mov_b32_e32 v1, 0
	s_branch .LBB37_3
.LBB37_2:                               ;   in Loop: Header=BB37_3 Depth=1
	s_or_b64 exec, exec, s[0:1]
	s_add_i32 s6, s6, s10
	v_add_u32_e32 v8, s30, v8
	s_cmp_lt_u32 s6, s11
	v_add_u32_e32 v9, s33, v9
	s_cbranch_scc0 .LBB37_7
.LBB37_3:                               ; =>This Inner Loop Header: Depth=1
	s_mul_hi_u32 s0, s14, s6
	s_add_i32 s0, s6, s0
	s_lshr_b32 s34, s0, s15
	s_mul_hi_u32 s0, s34, s12
	s_add_i32 s0, s34, s0
	s_lshr_b32 s3, s0, s13
	s_mul_i32 s0, s3, s7
	s_sub_i32 s35, s34, s0
	s_mul_i32 s0, s31, s34
	v_add_u32_e32 v2, s0, v9
	v_lshl_or_b32 v0, s35, 6, v5
	v_cmp_gt_u32_e32 vcc, s8, v0
	v_cmp_gt_u32_e64 s[0:1], s4, v2
	s_and_b64 s[36:37], vcc, s[0:1]
	s_waitcnt lgkmcnt(0)
	s_barrier
	s_and_saveexec_b64 s[0:1], s[36:37]
	s_cbranch_execz .LBB37_5
; %bb.4:                                ;   in Loop: Header=BB37_3 Depth=1
	v_mov_b32_e32 v3, s8
	v_mad_u64_u32 v[10:11], s[36:37], s3, v3, v[0:1]
	v_mad_u64_u32 v[12:13], s[36:37], v10, s4, 0
	v_mov_b32_e32 v0, v13
	v_mad_u64_u32 v[10:11], s[36:37], v11, s4, v[0:1]
	v_mov_b32_e32 v13, v10
	v_lshlrev_b64 v[10:11], 2, v[12:13]
	v_mov_b32_e32 v3, v1
	v_mov_b32_e32 v0, s19
	v_add_co_u32_e32 v10, vcc, s18, v10
	v_addc_co_u32_e32 v0, vcc, v0, v11, vcc
	v_lshlrev_b64 v[2:3], 2, v[2:3]
	v_add_co_u32_e32 v2, vcc, v10, v2
	v_addc_co_u32_e32 v3, vcc, v0, v3, vcc
	v_mov_b32_e32 v0, s21
	v_add_co_u32_e32 v10, vcc, s20, v2
	v_addc_co_u32_e32 v11, vcc, v3, v0, vcc
	v_mov_b32_e32 v0, s23
	v_add_co_u32_e32 v12, vcc, s22, v2
	v_addc_co_u32_e32 v13, vcc, v3, v0, vcc
	global_load_dword v0, v[2:3], off
	global_load_dword v14, v[10:11], off
	;; [unrolled: 1-line block ×3, first 2 shown]
	v_mov_b32_e32 v10, s25
	v_add_co_u32_e32 v2, vcc, s24, v2
	v_addc_co_u32_e32 v3, vcc, v3, v10, vcc
	global_load_dword v2, v[2:3], off
	s_waitcnt vmcnt(3)
	v_and_b32_e32 v3, 0xffff, v0
	v_lshrrev_b32_e32 v0, 16, v0
	s_waitcnt vmcnt(1)
	v_and_b32_e32 v11, 0xffff, v15
	v_lshl_or_b32 v10, v14, 16, v3
	v_lshrrev_b32_e32 v3, 16, v15
	v_and_or_b32 v12, v14, s5, v0
	s_waitcnt vmcnt(0)
	v_lshl_or_b32 v11, v2, 16, v11
	v_and_or_b32 v13, v2, s5, v3
	ds_write_b128 v6, v[10:13]
.LBB37_5:                               ;   in Loop: Header=BB37_3 Depth=1
	s_or_b64 exec, exec, s[0:1]
	s_mul_i32 s0, s29, s34
	v_lshl_or_b32 v2, s35, 4, v4
	v_add_u32_e32 v0, s0, v8
	v_cmp_gt_u32_e32 vcc, s2, v2
	v_cmp_gt_u32_e64 s[0:1], s9, v0
	s_and_b64 s[34:35], vcc, s[0:1]
	s_waitcnt lgkmcnt(0)
	s_barrier
	s_and_saveexec_b64 s[0:1], s[34:35]
	s_cbranch_execz .LBB37_2
; %bb.6:                                ;   in Loop: Header=BB37_3 Depth=1
	v_mov_b32_e32 v3, s28
	v_mad_u64_u32 v[10:11], s[34:35], s3, v3, v[0:1]
	v_mad_u64_u32 v[12:13], s[34:35], v10, s2, 0
	v_mov_b32_e32 v0, v13
	v_mad_u64_u32 v[10:11], s[34:35], v11, s2, v[0:1]
	v_mov_b32_e32 v13, v10
	v_lshlrev_b64 v[10:11], 3, v[12:13]
	v_mov_b32_e32 v0, s17
	v_add_co_u32_e32 v14, vcc, s16, v10
	v_addc_co_u32_e32 v0, vcc, v0, v11, vcc
	ds_read_b128 v[10:13], v7
	v_mov_b32_e32 v3, v1
	v_lshlrev_b64 v[2:3], 3, v[2:3]
	v_add_co_u32_e32 v2, vcc, v14, v2
	v_addc_co_u32_e32 v3, vcc, v0, v3, vcc
	s_waitcnt lgkmcnt(0)
	global_store_dwordx2 v[2:3], v[10:11], off
	v_mov_b32_e32 v0, s27
	v_add_co_u32_e32 v2, vcc, s26, v2
	v_addc_co_u32_e32 v3, vcc, v3, v0, vcc
	global_store_dwordx2 v[2:3], v[12:13], off
	s_branch .LBB37_2
.LBB37_7:
	s_endpgm
	.section	.rodata,"a",@progbits
	.p2align	6, 0x0
	.amdhsa_kernel batched_transpose_32x64_pack_2x4_ediv_2x4_half
		.amdhsa_group_segment_fixed_size 4352
		.amdhsa_private_segment_fixed_size 0
		.amdhsa_kernarg_size 48
		.amdhsa_user_sgpr_count 6
		.amdhsa_user_sgpr_private_segment_buffer 1
		.amdhsa_user_sgpr_dispatch_ptr 0
		.amdhsa_user_sgpr_queue_ptr 0
		.amdhsa_user_sgpr_kernarg_segment_ptr 1
		.amdhsa_user_sgpr_dispatch_id 0
		.amdhsa_user_sgpr_flat_scratch_init 0
		.amdhsa_user_sgpr_kernarg_preload_length 0
		.amdhsa_user_sgpr_kernarg_preload_offset 0
		.amdhsa_user_sgpr_private_segment_size 0
		.amdhsa_uses_dynamic_stack 0
		.amdhsa_system_sgpr_private_segment_wavefront_offset 0
		.amdhsa_system_sgpr_workgroup_id_x 1
		.amdhsa_system_sgpr_workgroup_id_y 0
		.amdhsa_system_sgpr_workgroup_id_z 0
		.amdhsa_system_sgpr_workgroup_info 0
		.amdhsa_system_vgpr_workitem_id 0
		.amdhsa_next_free_vgpr 16
		.amdhsa_next_free_sgpr 38
		.amdhsa_accum_offset 16
		.amdhsa_reserve_vcc 1
		.amdhsa_reserve_flat_scratch 0
		.amdhsa_float_round_mode_32 0
		.amdhsa_float_round_mode_16_64 0
		.amdhsa_float_denorm_mode_32 3
		.amdhsa_float_denorm_mode_16_64 3
		.amdhsa_dx10_clamp 1
		.amdhsa_ieee_mode 1
		.amdhsa_fp16_overflow 0
		.amdhsa_tg_split 0
		.amdhsa_exception_fp_ieee_invalid_op 0
		.amdhsa_exception_fp_denorm_src 0
		.amdhsa_exception_fp_ieee_div_zero 0
		.amdhsa_exception_fp_ieee_overflow 0
		.amdhsa_exception_fp_ieee_underflow 0
		.amdhsa_exception_fp_ieee_inexact 0
		.amdhsa_exception_int_div_zero 0
	.end_amdhsa_kernel
	.text
.Lfunc_end37:
	.size	batched_transpose_32x64_pack_2x4_ediv_2x4_half, .Lfunc_end37-batched_transpose_32x64_pack_2x4_ediv_2x4_half
                                        ; -- End function
	.section	.AMDGPU.csdata,"",@progbits
; Kernel info:
; codeLenInByte = 700
; NumSgprs: 42
; NumVgprs: 16
; NumAgprs: 0
; TotalNumVgprs: 16
; ScratchSize: 0
; MemoryBound: 0
; FloatMode: 240
; IeeeMode: 1
; LDSByteSize: 4352 bytes/workgroup (compile time only)
; SGPRBlocks: 5
; VGPRBlocks: 1
; NumSGPRsForWavesPerEU: 42
; NumVGPRsForWavesPerEU: 16
; AccumOffset: 16
; Occupancy: 8
; WaveLimiterHint : 0
; COMPUTE_PGM_RSRC2:SCRATCH_EN: 0
; COMPUTE_PGM_RSRC2:USER_SGPR: 6
; COMPUTE_PGM_RSRC2:TRAP_HANDLER: 0
; COMPUTE_PGM_RSRC2:TGID_X_EN: 1
; COMPUTE_PGM_RSRC2:TGID_Y_EN: 0
; COMPUTE_PGM_RSRC2:TGID_Z_EN: 0
; COMPUTE_PGM_RSRC2:TIDIG_COMP_CNT: 0
; COMPUTE_PGM_RSRC3_GFX90A:ACCUM_OFFSET: 3
; COMPUTE_PGM_RSRC3_GFX90A:TG_SPLIT: 0
	.text
	.protected	batched_transpose_32x64_pack_2x4_ediv_2x2_half ; -- Begin function batched_transpose_32x64_pack_2x4_ediv_2x2_half
	.globl	batched_transpose_32x64_pack_2x4_ediv_2x2_half
	.p2align	8
	.type	batched_transpose_32x64_pack_2x4_ediv_2x2_half,@function
batched_transpose_32x64_pack_2x4_ediv_2x2_half: ; @batched_transpose_32x64_pack_2x4_ediv_2x2_half
; %bb.0:
	s_load_dwordx8 s[8:15], s[4:5], 0x10
	s_waitcnt lgkmcnt(0)
	s_cmp_ge_u32 s6, s11
	s_cbranch_scc1 .LBB38_11
; %bb.1:
	s_load_dwordx4 s[16:19], s[4:5], 0x0
	s_add_i32 s20, s9, 31
	v_and_b32_e32 v12, 15, v0
	s_lshr_b32 s4, s9, 1
	s_add_i32 s0, s8, 63
	s_mov_b32 s5, 0
	v_lshrrev_b32_e32 v0, 4, v0
	v_mul_u32_u24_e32 v1, 17, v12
	s_and_b32 s21, s20, 0xffffffe0
	s_lshr_b32 s20, s20, 1
	s_lshr_b32 s2, s8, 1
	s_lshr_b32 s7, s0, 6
	v_lshlrev_b32_e32 v13, 1, v0
	s_lshl_b32 s0, s4, 5
	s_mov_b32 s1, s5
	s_mul_i32 s22, s4, 33
	s_mov_b32 s23, s5
	v_add_lshl_u32 v14, v1, v0, 4
	s_mov_b32 s3, s5
	v_mul_u32_u24_e32 v0, 17, v0
	s_and_b32 s20, s20, 0x7ffffff0
	v_add_lshl_u32 v15, v0, v12, 4
	s_sub_i32 s30, 0, s21
	v_lshl_or_b32 v16, s6, 5, v13
	s_lshl_b32 s31, s10, 5
	s_sub_i32 s33, 0, s20
	v_lshl_or_b32 v17, s6, 4, v12
	s_lshl_b32 s34, s10, 4
	v_mov_b32_e32 v18, s8
	s_lshl_b64 s[20:21], s[4:5], 2
	s_lshl_b64 s[22:23], s[22:23], 2
	s_lshl_b64 s[24:25], s[0:1], 2
	s_mov_b32 s5, 0xffff0000
	v_mov_b32_e32 v19, s9
	v_mov_b32_e32 v5, 0
	s_lshl_b64 s[26:27], s[2:3], 2
                                        ; implicit-def: $vgpr0_vgpr1_vgpr2_vgpr3
	s_branch .LBB38_3
.LBB38_2:                               ;   in Loop: Header=BB38_3 Depth=1
	s_or_b64 exec, exec, s[0:1]
	s_add_i32 s6, s6, s10
	v_add_u32_e32 v16, s31, v16
	s_cmp_lt_u32 s6, s11
	v_add_u32_e32 v17, s34, v17
	s_cbranch_scc0 .LBB38_11
.LBB38_3:                               ; =>This Inner Loop Header: Depth=1
	s_mul_hi_u32 s0, s14, s6
	s_add_i32 s0, s6, s0
	s_lshr_b32 s35, s0, s15
	s_mul_hi_u32 s0, s35, s12
	s_add_i32 s0, s35, s0
	s_lshr_b32 s3, s0, s13
	s_mul_i32 s0, s3, s7
	s_sub_i32 s36, s35, s0
	s_mul_i32 s0, s33, s35
	v_lshl_or_b32 v4, s36, 6, v13
	s_waitcnt lgkmcnt(0)
	v_add_u32_e32 v6, s0, v17
	v_mad_u64_u32 v[8:9], s[0:1], s3, v18, v[4:5]
	v_mov_b32_e32 v7, v5
	v_mad_u64_u32 v[10:11], s[0:1], v8, s4, v[6:7]
	v_mov_b32_e32 v8, v11
	;; [unrolled: 2-line block ×3, first 2 shown]
	v_cmp_gt_u32_e64 s[0:1], s8, v4
	v_cmp_gt_u32_e32 vcc, s4, v6
	s_and_b64 s[0:1], s[0:1], vcc
	v_lshlrev_b64 v[6:7], 2, v[10:11]
	s_waitcnt lgkmcnt(0)
	s_barrier
	s_and_saveexec_b64 s[28:29], s[0:1]
	s_cbranch_execz .LBB38_5
; %bb.4:                                ;   in Loop: Header=BB38_3 Depth=1
	v_mov_b32_e32 v0, s19
	v_add_co_u32_e64 v8, s[0:1], s18, v6
	v_addc_co_u32_e64 v9, s[0:1], v0, v7, s[0:1]
	v_mov_b32_e32 v0, s21
	v_add_co_u32_e64 v10, s[0:1], s20, v8
	v_addc_co_u32_e64 v11, s[0:1], v9, v0, s[0:1]
	global_load_dword v0, v[8:9], off
	global_load_dword v1, v[10:11], off
.LBB38_5:                               ;   in Loop: Header=BB38_3 Depth=1
	s_or_b64 exec, exec, s[28:29]
	v_add_u32_e32 v4, 32, v4
	v_cmp_gt_u32_e64 s[0:1], s8, v4
	s_and_b64 s[28:29], s[0:1], vcc
	s_and_saveexec_b64 s[0:1], s[28:29]
	s_cbranch_execz .LBB38_7
; %bb.6:                                ;   in Loop: Header=BB38_3 Depth=1
	v_mov_b32_e32 v2, s19
	v_add_co_u32_e32 v3, vcc, s18, v6
	v_addc_co_u32_e32 v2, vcc, v2, v7, vcc
	v_mov_b32_e32 v4, s23
	v_add_co_u32_e32 v6, vcc, s22, v3
	v_addc_co_u32_e32 v7, vcc, v2, v4, vcc
	;; [unrolled: 3-line block ×3, first 2 shown]
	global_load_dword v2, v[8:9], off
	global_load_dword v3, v[6:7], off
.LBB38_7:                               ;   in Loop: Header=BB38_3 Depth=1
	s_or_b64 exec, exec, s[0:1]
	s_waitcnt vmcnt(1)
	v_and_b32_e32 v4, 0xffff, v0
	v_and_b32_e32 v6, 0xffff, v2
	s_waitcnt vmcnt(0)
	v_lshl_or_b32 v7, v3, 16, v6
	v_lshl_or_b32 v6, v1, 16, v4
	v_lshrrev_b32_e32 v4, 16, v0
	v_lshrrev_b32_e32 v8, 16, v2
	s_mul_i32 s0, s30, s35
	v_and_or_b32 v9, v3, s5, v8
	v_and_or_b32 v8, v1, s5, v4
	v_add_u32_e32 v4, s0, v16
	ds_write_b128 v14, v[6:9]
	v_lshl_or_b32 v8, s36, 5, v12
	v_mad_u64_u32 v[6:7], s[0:1], s3, v19, v[4:5]
	v_mov_b32_e32 v9, v5
	v_mad_u64_u32 v[10:11], s[0:1], v6, s2, v[8:9]
	v_mov_b32_e32 v6, v11
	v_mad_u64_u32 v[6:7], s[0:1], v7, s2, v[6:7]
	s_waitcnt lgkmcnt(0)
	s_barrier
	v_mov_b32_e32 v11, v6
	ds_read2_b32 v[6:7], v15 offset0:1 offset1:3
	v_cmp_gt_u32_e64 s[0:1], s2, v8
	v_cmp_gt_u32_e32 vcc, s9, v4
	s_and_b64 s[0:1], s[0:1], vcc
	v_lshlrev_b64 v[10:11], 2, v[10:11]
	s_and_saveexec_b64 s[28:29], s[0:1]
	s_cbranch_execz .LBB38_9
; %bb.8:                                ;   in Loop: Header=BB38_3 Depth=1
	ds_read2_b32 v[22:23], v15 offset1:2
	v_mov_b32_e32 v4, s17
	v_add_co_u32_e64 v20, s[0:1], s16, v10
	v_addc_co_u32_e64 v21, s[0:1], v4, v11, s[0:1]
	v_mov_b32_e32 v4, s27
	v_add_co_u32_e64 v24, s[0:1], s26, v20
	v_addc_co_u32_e64 v25, s[0:1], v21, v4, s[0:1]
	s_waitcnt lgkmcnt(0)
	global_store_dword v[20:21], v22, off
	global_store_dword v[24:25], v23, off
.LBB38_9:                               ;   in Loop: Header=BB38_3 Depth=1
	s_or_b64 exec, exec, s[28:29]
	v_or_b32_e32 v4, 16, v8
	v_cmp_gt_u32_e64 s[0:1], s2, v4
	s_and_b64 s[28:29], s[0:1], vcc
	s_and_saveexec_b64 s[0:1], s[28:29]
	s_cbranch_execz .LBB38_2
; %bb.10:                               ;   in Loop: Header=BB38_3 Depth=1
	v_mov_b32_e32 v4, s17
	v_add_co_u32_e32 v8, vcc, s16, v10
	v_addc_co_u32_e32 v9, vcc, v4, v11, vcc
	v_mov_b32_e32 v4, s27
	v_add_co_u32_e32 v10, vcc, s26, v8
	v_addc_co_u32_e32 v11, vcc, v9, v4, vcc
	s_waitcnt lgkmcnt(0)
	global_store_dword v[8:9], v6, off offset:64
	global_store_dword v[10:11], v7, off offset:64
	s_branch .LBB38_2
.LBB38_11:
	s_endpgm
	.section	.rodata,"a",@progbits
	.p2align	6, 0x0
	.amdhsa_kernel batched_transpose_32x64_pack_2x4_ediv_2x2_half
		.amdhsa_group_segment_fixed_size 4352
		.amdhsa_private_segment_fixed_size 0
		.amdhsa_kernarg_size 48
		.amdhsa_user_sgpr_count 6
		.amdhsa_user_sgpr_private_segment_buffer 1
		.amdhsa_user_sgpr_dispatch_ptr 0
		.amdhsa_user_sgpr_queue_ptr 0
		.amdhsa_user_sgpr_kernarg_segment_ptr 1
		.amdhsa_user_sgpr_dispatch_id 0
		.amdhsa_user_sgpr_flat_scratch_init 0
		.amdhsa_user_sgpr_kernarg_preload_length 0
		.amdhsa_user_sgpr_kernarg_preload_offset 0
		.amdhsa_user_sgpr_private_segment_size 0
		.amdhsa_uses_dynamic_stack 0
		.amdhsa_system_sgpr_private_segment_wavefront_offset 0
		.amdhsa_system_sgpr_workgroup_id_x 1
		.amdhsa_system_sgpr_workgroup_id_y 0
		.amdhsa_system_sgpr_workgroup_id_z 0
		.amdhsa_system_sgpr_workgroup_info 0
		.amdhsa_system_vgpr_workitem_id 0
		.amdhsa_next_free_vgpr 26
		.amdhsa_next_free_sgpr 37
		.amdhsa_accum_offset 28
		.amdhsa_reserve_vcc 1
		.amdhsa_reserve_flat_scratch 0
		.amdhsa_float_round_mode_32 0
		.amdhsa_float_round_mode_16_64 0
		.amdhsa_float_denorm_mode_32 3
		.amdhsa_float_denorm_mode_16_64 3
		.amdhsa_dx10_clamp 1
		.amdhsa_ieee_mode 1
		.amdhsa_fp16_overflow 0
		.amdhsa_tg_split 0
		.amdhsa_exception_fp_ieee_invalid_op 0
		.amdhsa_exception_fp_denorm_src 0
		.amdhsa_exception_fp_ieee_div_zero 0
		.amdhsa_exception_fp_ieee_overflow 0
		.amdhsa_exception_fp_ieee_underflow 0
		.amdhsa_exception_fp_ieee_inexact 0
		.amdhsa_exception_int_div_zero 0
	.end_amdhsa_kernel
	.text
.Lfunc_end38:
	.size	batched_transpose_32x64_pack_2x4_ediv_2x2_half, .Lfunc_end38-batched_transpose_32x64_pack_2x4_ediv_2x2_half
                                        ; -- End function
	.section	.AMDGPU.csdata,"",@progbits
; Kernel info:
; codeLenInByte = 812
; NumSgprs: 41
; NumVgprs: 26
; NumAgprs: 0
; TotalNumVgprs: 26
; ScratchSize: 0
; MemoryBound: 0
; FloatMode: 240
; IeeeMode: 1
; LDSByteSize: 4352 bytes/workgroup (compile time only)
; SGPRBlocks: 5
; VGPRBlocks: 3
; NumSGPRsForWavesPerEU: 41
; NumVGPRsForWavesPerEU: 26
; AccumOffset: 28
; Occupancy: 8
; WaveLimiterHint : 0
; COMPUTE_PGM_RSRC2:SCRATCH_EN: 0
; COMPUTE_PGM_RSRC2:USER_SGPR: 6
; COMPUTE_PGM_RSRC2:TRAP_HANDLER: 0
; COMPUTE_PGM_RSRC2:TGID_X_EN: 1
; COMPUTE_PGM_RSRC2:TGID_Y_EN: 0
; COMPUTE_PGM_RSRC2:TGID_Z_EN: 0
; COMPUTE_PGM_RSRC2:TIDIG_COMP_CNT: 0
; COMPUTE_PGM_RSRC3_GFX90A:ACCUM_OFFSET: 6
; COMPUTE_PGM_RSRC3_GFX90A:TG_SPLIT: 0
	.text
	.protected	batched_transpose_32x64_pack_2x4_ediv_1x2_half ; -- Begin function batched_transpose_32x64_pack_2x4_ediv_1x2_half
	.globl	batched_transpose_32x64_pack_2x4_ediv_1x2_half
	.p2align	8
	.type	batched_transpose_32x64_pack_2x4_ediv_1x2_half,@function
batched_transpose_32x64_pack_2x4_ediv_1x2_half: ; @batched_transpose_32x64_pack_2x4_ediv_1x2_half
; %bb.0:
	s_load_dwordx8 s[8:15], s[4:5], 0x10
	s_waitcnt lgkmcnt(0)
	s_cmp_ge_u32 s6, s11
	s_cbranch_scc1 .LBB39_19
; %bb.1:
	s_load_dwordx4 s[16:19], s[4:5], 0x0
	s_lshr_b32 s7, s8, 1
	s_add_i32 s0, s8, 63
	s_mov_b32 s5, 0
	s_lshr_b32 s28, s0, 6
	s_lshl_b32 s0, s7, 4
	s_mov_b32 s1, s5
	s_add_i32 s2, s9, 31
	s_lshl_b32 s20, s9, 5
	s_lshl_b64 s[0:1], s[0:1], 2
	s_waitcnt lgkmcnt(0)
	s_add_u32 s29, s16, s0
	s_addc_u32 s30, s17, s1
	s_add_u32 s31, s16, 64
	v_and_b32_e32 v12, 15, v0
	s_addc_u32 s33, s17, 0
	v_lshrrev_b32_e32 v13, 4, v0
	v_mul_u32_u24_e32 v0, 17, v12
	s_add_u32 s34, s29, 64
	s_mov_b32 s4, s9
	v_add_lshl_u32 v15, v0, v13, 4
	v_mul_u32_u24_e32 v0, 17, v13
	s_addc_u32 s35, s30, 0
	s_andn2_b32 s2, s2, 31
	v_lshlrev_b32_e32 v14, 1, v13
	s_mov_b32 s21, s5
	s_mul_i32 s22, s9, 33
	s_mov_b32 s23, s5
	v_add_lshl_u32 v16, v0, v12, 4
	s_sub_i32 s36, 0, s2
	s_lshl_b32 s37, s6, 5
	s_lshl_b32 s38, s10, 5
	v_mov_b32_e32 v17, s8
	s_mov_b32 s39, 0xffff
	s_mov_b32 s40, 0x5040100
	;; [unrolled: 1-line block ×4, first 2 shown]
	v_mov_b32_e32 v5, 0
	s_lshl_b64 s[24:25], s[4:5], 1
                                        ; implicit-def: $vgpr0_vgpr1_vgpr2_vgpr3
	s_branch .LBB39_3
.LBB39_2:                               ;   in Loop: Header=BB39_3 Depth=1
	s_or_b64 exec, exec, s[0:1]
	s_add_i32 s6, s6, s10
	s_add_i32 s37, s37, s38
	s_cmp_lt_u32 s6, s11
	s_cbranch_scc0 .LBB39_19
.LBB39_3:                               ; =>This Inner Loop Header: Depth=1
	s_mul_hi_u32 s0, s14, s6
	s_add_i32 s0, s6, s0
	s_lshr_b32 s0, s0, s15
	s_mul_hi_u32 s1, s0, s12
	s_add_i32 s1, s0, s1
	s_lshr_b32 s5, s1, s13
	s_mul_i32 s1, s5, s28
	s_sub_i32 s43, s0, s1
	s_mul_i32 s44, s36, s0
	s_add_i32 s44, s44, s37
	v_lshl_or_b32 v4, s43, 6, v14
	s_waitcnt lgkmcnt(1)
	v_add_u32_e32 v8, s44, v12
	v_mad_u64_u32 v[6:7], s[0:1], s5, v17, v[4:5]
	v_mov_b32_e32 v9, v5
	s_waitcnt lgkmcnt(0)
	v_mad_u64_u32 v[10:11], s[0:1], v6, s4, v[8:9]
	v_mov_b32_e32 v6, v11
	v_mad_u64_u32 v[6:7], s[0:1], v7, s4, v[6:7]
	v_mov_b32_e32 v11, v6
	v_cmp_gt_u32_e64 s[2:3], s8, v4
	v_cmp_gt_u32_e64 s[0:1], s9, v8
	s_and_b64 s[46:47], s[2:3], s[0:1]
	v_lshlrev_b64 v[6:7], 1, v[10:11]
	s_barrier
	s_and_saveexec_b64 s[26:27], s[46:47]
	s_cbranch_execz .LBB39_5
; %bb.4:                                ;   in Loop: Header=BB39_3 Depth=1
	v_mov_b32_e32 v9, s19
	v_add_co_u32_e32 v10, vcc, s18, v6
	v_addc_co_u32_e32 v11, vcc, v9, v7, vcc
	v_mov_b32_e32 v9, s25
	v_add_co_u32_e32 v18, vcc, s24, v10
	v_addc_co_u32_e32 v19, vcc, v11, v9, vcc
	global_load_ushort v9, v[10:11], off
	global_load_ushort v20, v[18:19], off
	s_waitcnt vmcnt(1)
	v_bfi_b32 v0, s39, v9, v0
	s_waitcnt vmcnt(0)
	v_bfi_b32 v1, s39, v20, v1
.LBB39_5:                               ;   in Loop: Header=BB39_3 Depth=1
	s_or_b64 exec, exec, s[26:27]
	v_add_u32_e32 v8, 16, v8
	v_cmp_gt_u32_e32 vcc, s9, v8
	s_and_b64 s[2:3], s[2:3], vcc
	s_and_saveexec_b64 s[26:27], s[2:3]
	s_cbranch_execz .LBB39_7
; %bb.6:                                ;   in Loop: Header=BB39_3 Depth=1
	v_mov_b32_e32 v9, s19
	v_add_co_u32_e64 v8, s[2:3], s18, v6
	v_addc_co_u32_e64 v9, s[2:3], v9, v7, s[2:3]
	v_mov_b32_e32 v11, s25
	v_add_co_u32_e64 v10, s[2:3], s24, v8
	v_addc_co_u32_e64 v11, s[2:3], v9, v11, s[2:3]
	global_load_ushort v18, v[8:9], off offset:32
	global_load_ushort v19, v[10:11], off offset:32
	s_waitcnt vmcnt(1)
	v_perm_b32 v0, v18, v0, s40
	s_waitcnt vmcnt(0)
	v_perm_b32 v1, v19, v1, s40
.LBB39_7:                               ;   in Loop: Header=BB39_3 Depth=1
	s_or_b64 exec, exec, s[26:27]
	v_add_u32_e32 v4, 32, v4
	v_cmp_gt_u32_e64 s[2:3], s8, v4
	s_and_b64 s[0:1], s[2:3], s[0:1]
	s_and_saveexec_b64 s[26:27], s[0:1]
	s_cbranch_execz .LBB39_9
; %bb.8:                                ;   in Loop: Header=BB39_3 Depth=1
	v_mov_b32_e32 v4, s19
	v_add_co_u32_e64 v10, s[0:1], s18, v6
	v_addc_co_u32_e64 v4, s[0:1], v4, v7, s[0:1]
	s_lshl_b64 s[0:1], s[22:23], 1
	v_mov_b32_e32 v9, s1
	v_add_co_u32_e64 v8, s[0:1], s0, v10
	v_addc_co_u32_e64 v9, s[0:1], v4, v9, s[0:1]
	s_lshl_b64 s[0:1], s[20:21], 1
	v_mov_b32_e32 v11, s1
	v_add_co_u32_e64 v10, s[0:1], s0, v10
	v_addc_co_u32_e64 v11, s[0:1], v4, v11, s[0:1]
	global_load_ushort v4, v[10:11], off
	global_load_ushort v18, v[8:9], off
	s_waitcnt vmcnt(1)
	v_bfi_b32 v2, s39, v4, v2
	s_waitcnt vmcnt(0)
	v_bfi_b32 v3, s39, v18, v3
.LBB39_9:                               ;   in Loop: Header=BB39_3 Depth=1
	s_or_b64 exec, exec, s[26:27]
	s_and_b64 s[2:3], s[2:3], vcc
	s_and_saveexec_b64 s[0:1], s[2:3]
	s_cbranch_execz .LBB39_11
; %bb.10:                               ;   in Loop: Header=BB39_3 Depth=1
	v_mov_b32_e32 v4, s19
	v_add_co_u32_e32 v8, vcc, s18, v6
	v_addc_co_u32_e32 v4, vcc, v4, v7, vcc
	s_lshl_b64 s[2:3], s[22:23], 1
	v_mov_b32_e32 v7, s3
	v_add_co_u32_e32 v6, vcc, s2, v8
	v_addc_co_u32_e32 v7, vcc, v4, v7, vcc
	s_lshl_b64 s[2:3], s[20:21], 1
	v_mov_b32_e32 v9, s3
	v_add_co_u32_e32 v8, vcc, s2, v8
	v_addc_co_u32_e32 v9, vcc, v4, v9, vcc
	global_load_ushort v4, v[8:9], off offset:32
	global_load_ushort v10, v[6:7], off offset:32
	s_waitcnt vmcnt(1)
	v_perm_b32 v2, v4, v2, s40
	s_waitcnt vmcnt(0)
	v_perm_b32 v3, v10, v3, s40
.LBB39_11:                              ;   in Loop: Header=BB39_3 Depth=1
	s_or_b64 exec, exec, s[0:1]
	v_perm_b32 v6, v0, v1, s41
	v_perm_b32 v9, v2, v3, s42
	v_perm_b32 v8, v0, v1, s42
	v_perm_b32 v7, v2, v3, s41
	ds_write_b128 v15, v[6:9]
	v_add_u32_e32 v4, s44, v13
	v_mov_b32_e32 v6, s4
	v_lshl_or_b32 v10, s43, 5, v12
	v_mad_u64_u32 v[6:7], s[0:1], s5, v6, v[4:5]
	v_mov_b32_e32 v11, v5
	s_waitcnt lgkmcnt(0)
	s_barrier
	v_mad_u64_u32 v[18:19], s[0:1], v6, s7, v[10:11]
	ds_read2_b32 v[8:9], v16 offset0:1 offset1:2
	ds_read_b32 v11, v16 offset:12
	v_mov_b32_e32 v6, v19
	v_mad_u64_u32 v[6:7], s[0:1], v7, s7, v[6:7]
	v_mov_b32_e32 v19, v6
	v_cmp_gt_u32_e32 vcc, s7, v10
	v_cmp_gt_u32_e64 s[2:3], s9, v4
	s_and_b64 s[0:1], s[2:3], vcc
	v_lshlrev_b64 v[6:7], 2, v[18:19]
	s_and_saveexec_b64 s[26:27], s[0:1]
	s_cbranch_execz .LBB39_13
; %bb.12:                               ;   in Loop: Header=BB39_3 Depth=1
	ds_read_b32 v20, v16
	v_mov_b32_e32 v19, s17
	v_add_co_u32_e64 v18, s[0:1], s16, v6
	v_addc_co_u32_e64 v19, s[0:1], v19, v7, s[0:1]
	s_waitcnt lgkmcnt(0)
	global_store_dword v[18:19], v20, off
.LBB39_13:                              ;   in Loop: Header=BB39_3 Depth=1
	s_or_b64 exec, exec, s[26:27]
	v_or_b32_e32 v10, 16, v10
	v_cmp_gt_u32_e64 s[0:1], s7, v10
	s_and_b64 s[2:3], s[2:3], s[0:1]
	s_and_saveexec_b64 s[26:27], s[2:3]
	s_cbranch_execz .LBB39_15
; %bb.14:                               ;   in Loop: Header=BB39_3 Depth=1
	v_mov_b32_e32 v10, s33
	v_add_co_u32_e64 v18, s[2:3], s31, v6
	v_addc_co_u32_e64 v19, s[2:3], v10, v7, s[2:3]
	s_waitcnt lgkmcnt(1)
	global_store_dword v[18:19], v8, off
.LBB39_15:                              ;   in Loop: Header=BB39_3 Depth=1
	s_or_b64 exec, exec, s[26:27]
	v_add_u32_e32 v4, 16, v4
	v_cmp_gt_u32_e64 s[2:3], s9, v4
	s_and_b64 s[44:45], s[2:3], vcc
	s_and_saveexec_b64 s[26:27], s[44:45]
	s_cbranch_execz .LBB39_17
; %bb.16:                               ;   in Loop: Header=BB39_3 Depth=1
	v_mov_b32_e32 v4, s30
	v_add_co_u32_e32 v18, vcc, s29, v6
	v_addc_co_u32_e32 v19, vcc, v4, v7, vcc
	s_waitcnt lgkmcnt(1)
	global_store_dword v[18:19], v9, off
.LBB39_17:                              ;   in Loop: Header=BB39_3 Depth=1
	s_or_b64 exec, exec, s[26:27]
	s_and_b64 s[2:3], s[2:3], s[0:1]
	s_and_saveexec_b64 s[0:1], s[2:3]
	s_cbranch_execz .LBB39_2
; %bb.18:                               ;   in Loop: Header=BB39_3 Depth=1
	v_mov_b32_e32 v4, s35
	v_add_co_u32_e32 v6, vcc, s34, v6
	v_addc_co_u32_e32 v7, vcc, v4, v7, vcc
	s_waitcnt lgkmcnt(0)
	global_store_dword v[6:7], v11, off
	s_branch .LBB39_2
.LBB39_19:
	s_endpgm
	.section	.rodata,"a",@progbits
	.p2align	6, 0x0
	.amdhsa_kernel batched_transpose_32x64_pack_2x4_ediv_1x2_half
		.amdhsa_group_segment_fixed_size 4352
		.amdhsa_private_segment_fixed_size 0
		.amdhsa_kernarg_size 48
		.amdhsa_user_sgpr_count 6
		.amdhsa_user_sgpr_private_segment_buffer 1
		.amdhsa_user_sgpr_dispatch_ptr 0
		.amdhsa_user_sgpr_queue_ptr 0
		.amdhsa_user_sgpr_kernarg_segment_ptr 1
		.amdhsa_user_sgpr_dispatch_id 0
		.amdhsa_user_sgpr_flat_scratch_init 0
		.amdhsa_user_sgpr_kernarg_preload_length 0
		.amdhsa_user_sgpr_kernarg_preload_offset 0
		.amdhsa_user_sgpr_private_segment_size 0
		.amdhsa_uses_dynamic_stack 0
		.amdhsa_system_sgpr_private_segment_wavefront_offset 0
		.amdhsa_system_sgpr_workgroup_id_x 1
		.amdhsa_system_sgpr_workgroup_id_y 0
		.amdhsa_system_sgpr_workgroup_id_z 0
		.amdhsa_system_sgpr_workgroup_info 0
		.amdhsa_system_vgpr_workitem_id 0
		.amdhsa_next_free_vgpr 21
		.amdhsa_next_free_sgpr 48
		.amdhsa_accum_offset 24
		.amdhsa_reserve_vcc 1
		.amdhsa_reserve_flat_scratch 0
		.amdhsa_float_round_mode_32 0
		.amdhsa_float_round_mode_16_64 0
		.amdhsa_float_denorm_mode_32 3
		.amdhsa_float_denorm_mode_16_64 3
		.amdhsa_dx10_clamp 1
		.amdhsa_ieee_mode 1
		.amdhsa_fp16_overflow 0
		.amdhsa_tg_split 0
		.amdhsa_exception_fp_ieee_invalid_op 0
		.amdhsa_exception_fp_denorm_src 0
		.amdhsa_exception_fp_ieee_div_zero 0
		.amdhsa_exception_fp_ieee_overflow 0
		.amdhsa_exception_fp_ieee_underflow 0
		.amdhsa_exception_fp_ieee_inexact 0
		.amdhsa_exception_int_div_zero 0
	.end_amdhsa_kernel
	.text
.Lfunc_end39:
	.size	batched_transpose_32x64_pack_2x4_ediv_1x2_half, .Lfunc_end39-batched_transpose_32x64_pack_2x4_ediv_1x2_half
                                        ; -- End function
	.section	.AMDGPU.csdata,"",@progbits
; Kernel info:
; codeLenInByte = 1120
; NumSgprs: 52
; NumVgprs: 21
; NumAgprs: 0
; TotalNumVgprs: 21
; ScratchSize: 0
; MemoryBound: 0
; FloatMode: 240
; IeeeMode: 1
; LDSByteSize: 4352 bytes/workgroup (compile time only)
; SGPRBlocks: 6
; VGPRBlocks: 2
; NumSGPRsForWavesPerEU: 52
; NumVGPRsForWavesPerEU: 21
; AccumOffset: 24
; Occupancy: 8
; WaveLimiterHint : 0
; COMPUTE_PGM_RSRC2:SCRATCH_EN: 0
; COMPUTE_PGM_RSRC2:USER_SGPR: 6
; COMPUTE_PGM_RSRC2:TRAP_HANDLER: 0
; COMPUTE_PGM_RSRC2:TGID_X_EN: 1
; COMPUTE_PGM_RSRC2:TGID_Y_EN: 0
; COMPUTE_PGM_RSRC2:TGID_Z_EN: 0
; COMPUTE_PGM_RSRC2:TIDIG_COMP_CNT: 0
; COMPUTE_PGM_RSRC3_GFX90A:ACCUM_OFFSET: 5
; COMPUTE_PGM_RSRC3_GFX90A:TG_SPLIT: 0
	.text
	.protected	batched_transpose_16x64_pack_1x4_ediv_1x2_half ; -- Begin function batched_transpose_16x64_pack_1x4_ediv_1x2_half
	.globl	batched_transpose_16x64_pack_1x4_ediv_1x2_half
	.p2align	8
	.type	batched_transpose_16x64_pack_1x4_ediv_1x2_half,@function
batched_transpose_16x64_pack_1x4_ediv_1x2_half: ; @batched_transpose_16x64_pack_1x4_ediv_1x2_half
; %bb.0:
	s_load_dwordx8 s[8:15], s[4:5], 0x10
	s_waitcnt lgkmcnt(0)
	s_cmp_ge_u32 s6, s11
	s_cbranch_scc1 .LBB40_11
; %bb.1:
	s_load_dwordx4 s[16:19], s[4:5], 0x0
	s_add_i32 s0, s8, 63
	s_lshr_b32 s7, s8, 1
	s_lshr_b32 s26, s0, 6
	s_add_i32 s4, s9, 15
	v_and_b32_e32 v6, 15, v0
	s_lshl_b32 s0, s9, 5
	s_mov_b32 s3, 0
	v_lshrrev_b32_e32 v7, 4, v0
	v_mul_u32_u24_e32 v0, 17, v6
	s_waitcnt lgkmcnt(0)
	s_add_u32 s27, s16, 64
	s_mov_b32 s2, s9
	s_mov_b32 s1, s3
	s_mul_i32 s20, s9, 33
	s_mov_b32 s21, s3
	v_add_lshl_u32 v9, v0, v7, 2
	v_mul_u32_u24_e32 v0, 17, v7
	s_addc_u32 s28, s17, 0
	s_and_b32 s4, s4, -16
	v_lshlrev_b32_e32 v8, 1, v7
	v_add_lshl_u32 v10, v0, v6, 2
	s_sub_i32 s29, 0, s4
	s_lshl_b32 s30, s6, 4
	s_lshl_b32 s31, s10, 4
	v_mov_b32_e32 v11, s8
	s_lshl_b64 s[4:5], s[2:3], 1
	s_lshl_b64 s[20:21], s[20:21], 1
	;; [unrolled: 1-line block ×3, first 2 shown]
	s_mov_b32 s3, 0x5040100
	v_mov_b32_e32 v12, s9
	v_mov_b32_e32 v1, 0
                                        ; implicit-def: $vgpr16
                                        ; implicit-def: $vgpr15
                                        ; implicit-def: $vgpr13
                                        ; implicit-def: $vgpr14
	s_branch .LBB40_3
.LBB40_2:                               ;   in Loop: Header=BB40_3 Depth=1
	s_or_b64 exec, exec, s[0:1]
	s_add_i32 s6, s6, s10
	s_add_i32 s30, s30, s31
	s_cmp_lt_u32 s6, s11
	s_cbranch_scc0 .LBB40_11
.LBB40_3:                               ; =>This Inner Loop Header: Depth=1
	s_mul_hi_u32 s0, s14, s6
	s_add_i32 s0, s6, s0
	s_lshr_b32 s0, s0, s15
	s_mul_hi_u32 s1, s0, s12
	s_add_i32 s1, s0, s1
	s_lshr_b32 s33, s1, s13
	s_mul_i32 s1, s33, s26
	s_sub_i32 s34, s0, s1
	s_mul_i32 s35, s29, s0
	s_add_i32 s35, s35, s30
	v_lshl_or_b32 v0, s34, 6, v8
	v_add_u32_e32 v2, s35, v6
	v_mad_u64_u32 v[4:5], s[0:1], s33, v11, v[0:1]
	s_waitcnt lgkmcnt(0)
	v_mov_b32_e32 v3, v1
	v_mad_u64_u32 v[18:19], s[0:1], v4, s2, v[2:3]
	v_mov_b32_e32 v4, v19
	v_mad_u64_u32 v[4:5], s[0:1], v5, s2, v[4:5]
	v_mov_b32_e32 v19, v4
	v_cmp_gt_u32_e64 s[0:1], s8, v0
	v_cmp_gt_u32_e32 vcc, s9, v2
	s_and_b64 s[0:1], s[0:1], vcc
	v_lshlrev_b64 v[2:3], 1, v[18:19]
	s_barrier
	s_and_saveexec_b64 s[24:25], s[0:1]
	s_cbranch_execz .LBB40_5
; %bb.4:                                ;   in Loop: Header=BB40_3 Depth=1
	v_mov_b32_e32 v5, s19
	v_add_co_u32_e64 v4, s[0:1], s18, v2
	v_addc_co_u32_e64 v5, s[0:1], v5, v3, s[0:1]
	v_mov_b32_e32 v13, s5
	v_add_co_u32_e64 v18, s[0:1], s4, v4
	v_addc_co_u32_e64 v19, s[0:1], v5, v13, s[0:1]
	global_load_ushort v14, v[4:5], off
	global_load_ushort v13, v[18:19], off
.LBB40_5:                               ;   in Loop: Header=BB40_3 Depth=1
	s_or_b64 exec, exec, s[24:25]
	v_add_u32_e32 v0, 32, v0
	v_cmp_gt_u32_e64 s[0:1], s8, v0
	s_and_b64 s[24:25], s[0:1], vcc
	s_and_saveexec_b64 s[0:1], s[24:25]
	s_cbranch_execz .LBB40_7
; %bb.6:                                ;   in Loop: Header=BB40_3 Depth=1
	v_mov_b32_e32 v0, s19
	v_add_co_u32_e32 v4, vcc, s18, v2
	v_addc_co_u32_e32 v0, vcc, v0, v3, vcc
	v_mov_b32_e32 v3, s21
	v_add_co_u32_e32 v2, vcc, s20, v4
	v_addc_co_u32_e32 v3, vcc, v0, v3, vcc
	;; [unrolled: 3-line block ×3, first 2 shown]
	global_load_ushort v15, v[4:5], off
	global_load_ushort v16, v[2:3], off
.LBB40_7:                               ;   in Loop: Header=BB40_3 Depth=1
	s_or_b64 exec, exec, s[0:1]
	s_waitcnt vmcnt(0)
	v_perm_b32 v0, v13, v14, s3
	v_perm_b32 v2, v16, v15, s3
	ds_write_b32 v9, v0
	ds_write_b32 v9, v2 offset:1088
	v_add_u32_e32 v0, s35, v7
	v_lshl_or_b32 v2, s34, 5, v6
	v_mad_u64_u32 v[4:5], s[0:1], s33, v12, v[0:1]
	v_mov_b32_e32 v3, v1
	s_waitcnt lgkmcnt(0)
	s_barrier
	v_mad_u64_u32 v[18:19], s[0:1], v4, s7, v[2:3]
	ds_read_b32 v3, v10 offset:1088
	v_mov_b32_e32 v4, v19
	v_mad_u64_u32 v[4:5], s[0:1], v5, s7, v[4:5]
	v_mov_b32_e32 v19, v4
	v_cmp_gt_u32_e64 s[0:1], s7, v2
	v_cmp_gt_u32_e32 vcc, s9, v0
	s_and_b64 s[0:1], vcc, s[0:1]
	v_lshlrev_b64 v[4:5], 2, v[18:19]
	s_and_saveexec_b64 s[24:25], s[0:1]
	s_cbranch_execz .LBB40_9
; %bb.8:                                ;   in Loop: Header=BB40_3 Depth=1
	ds_read_b32 v17, v10
	v_mov_b32_e32 v0, s17
	v_add_co_u32_e64 v18, s[0:1], s16, v4
	v_addc_co_u32_e64 v19, s[0:1], v0, v5, s[0:1]
	s_waitcnt lgkmcnt(0)
	global_store_dword v[18:19], v17, off
.LBB40_9:                               ;   in Loop: Header=BB40_3 Depth=1
	s_or_b64 exec, exec, s[24:25]
	v_or_b32_e32 v0, 16, v2
	v_cmp_gt_u32_e64 s[0:1], s7, v0
	s_and_b64 s[24:25], vcc, s[0:1]
	s_and_saveexec_b64 s[0:1], s[24:25]
	s_cbranch_execz .LBB40_2
; %bb.10:                               ;   in Loop: Header=BB40_3 Depth=1
	v_mov_b32_e32 v0, s28
	v_add_co_u32_e32 v4, vcc, s27, v4
	v_addc_co_u32_e32 v5, vcc, v0, v5, vcc
	s_waitcnt lgkmcnt(0)
	global_store_dword v[4:5], v3, off
	s_branch .LBB40_2
.LBB40_11:
	s_endpgm
	.section	.rodata,"a",@progbits
	.p2align	6, 0x0
	.amdhsa_kernel batched_transpose_16x64_pack_1x4_ediv_1x2_half
		.amdhsa_group_segment_fixed_size 2176
		.amdhsa_private_segment_fixed_size 0
		.amdhsa_kernarg_size 48
		.amdhsa_user_sgpr_count 6
		.amdhsa_user_sgpr_private_segment_buffer 1
		.amdhsa_user_sgpr_dispatch_ptr 0
		.amdhsa_user_sgpr_queue_ptr 0
		.amdhsa_user_sgpr_kernarg_segment_ptr 1
		.amdhsa_user_sgpr_dispatch_id 0
		.amdhsa_user_sgpr_flat_scratch_init 0
		.amdhsa_user_sgpr_kernarg_preload_length 0
		.amdhsa_user_sgpr_kernarg_preload_offset 0
		.amdhsa_user_sgpr_private_segment_size 0
		.amdhsa_uses_dynamic_stack 0
		.amdhsa_system_sgpr_private_segment_wavefront_offset 0
		.amdhsa_system_sgpr_workgroup_id_x 1
		.amdhsa_system_sgpr_workgroup_id_y 0
		.amdhsa_system_sgpr_workgroup_id_z 0
		.amdhsa_system_sgpr_workgroup_info 0
		.amdhsa_system_vgpr_workitem_id 0
		.amdhsa_next_free_vgpr 20
		.amdhsa_next_free_sgpr 36
		.amdhsa_accum_offset 20
		.amdhsa_reserve_vcc 1
		.amdhsa_reserve_flat_scratch 0
		.amdhsa_float_round_mode_32 0
		.amdhsa_float_round_mode_16_64 0
		.amdhsa_float_denorm_mode_32 3
		.amdhsa_float_denorm_mode_16_64 3
		.amdhsa_dx10_clamp 1
		.amdhsa_ieee_mode 1
		.amdhsa_fp16_overflow 0
		.amdhsa_tg_split 0
		.amdhsa_exception_fp_ieee_invalid_op 0
		.amdhsa_exception_fp_denorm_src 0
		.amdhsa_exception_fp_ieee_div_zero 0
		.amdhsa_exception_fp_ieee_overflow 0
		.amdhsa_exception_fp_ieee_underflow 0
		.amdhsa_exception_fp_ieee_inexact 0
		.amdhsa_exception_int_div_zero 0
	.end_amdhsa_kernel
	.text
.Lfunc_end40:
	.size	batched_transpose_16x64_pack_1x4_ediv_1x2_half, .Lfunc_end40-batched_transpose_16x64_pack_1x4_ediv_1x2_half
                                        ; -- End function
	.section	.AMDGPU.csdata,"",@progbits
; Kernel info:
; codeLenInByte = 688
; NumSgprs: 40
; NumVgprs: 20
; NumAgprs: 0
; TotalNumVgprs: 20
; ScratchSize: 0
; MemoryBound: 0
; FloatMode: 240
; IeeeMode: 1
; LDSByteSize: 2176 bytes/workgroup (compile time only)
; SGPRBlocks: 4
; VGPRBlocks: 2
; NumSGPRsForWavesPerEU: 40
; NumVGPRsForWavesPerEU: 20
; AccumOffset: 20
; Occupancy: 8
; WaveLimiterHint : 0
; COMPUTE_PGM_RSRC2:SCRATCH_EN: 0
; COMPUTE_PGM_RSRC2:USER_SGPR: 6
; COMPUTE_PGM_RSRC2:TRAP_HANDLER: 0
; COMPUTE_PGM_RSRC2:TGID_X_EN: 1
; COMPUTE_PGM_RSRC2:TGID_Y_EN: 0
; COMPUTE_PGM_RSRC2:TGID_Z_EN: 0
; COMPUTE_PGM_RSRC2:TIDIG_COMP_CNT: 0
; COMPUTE_PGM_RSRC3_GFX90A:ACCUM_OFFSET: 4
; COMPUTE_PGM_RSRC3_GFX90A:TG_SPLIT: 0
	.text
	.protected	batched_transpose_64x16_pack_4x1_ediv_2x1_half ; -- Begin function batched_transpose_64x16_pack_4x1_ediv_2x1_half
	.globl	batched_transpose_64x16_pack_4x1_ediv_2x1_half
	.p2align	8
	.type	batched_transpose_64x16_pack_4x1_ediv_2x1_half,@function
batched_transpose_64x16_pack_4x1_ediv_2x1_half: ; @batched_transpose_64x16_pack_4x1_ediv_2x1_half
; %bb.0:
	s_load_dwordx8 s[8:15], s[4:5], 0x10
	s_waitcnt lgkmcnt(0)
	s_cmp_ge_u32 s6, s11
	s_cbranch_scc1 .LBB41_11
; %bb.1:
	s_load_dwordx4 s[16:19], s[4:5], 0x0
	s_add_i32 s0, s8, 15
	s_lshr_b32 s7, s9, 1
	s_lshr_b32 s26, s0, 4
	s_add_i32 s20, s9, 63
	s_lshl_b32 s0, s8, 5
	v_and_b32_e32 v6, 15, v0
	s_waitcnt lgkmcnt(0)
	s_add_u32 s27, s18, 64
	s_mov_b32 s3, 0
	v_lshrrev_b32_e32 v7, 4, v0
	v_mul_u32_u24_e32 v0, 17, v6
	s_addc_u32 s28, s19, 0
	s_and_b32 s22, s20, 0xffffffc0
	s_lshr_b32 s20, s20, 1
	s_mov_b32 s2, s8
	v_add_lshl_u32 v8, v0, v7, 2
	v_lshlrev_b32_e32 v0, 1, v7
	v_mul_u32_u24_e32 v1, 17, v7
	s_mov_b32 s1, s3
	s_mul_i32 s4, s8, 33
	s_mov_b32 s5, s3
	s_and_b32 s20, s20, 0x7fffffe0
	v_add_lshl_u32 v9, v1, v6, 2
	s_sub_i32 s29, 0, s22
	v_lshl_or_b32 v10, s6, 6, v0
	s_lshl_b32 s30, s10, 6
	s_sub_i32 s31, 0, s20
	v_lshl_or_b32 v11, s6, 5, v6
	s_lshl_b32 s33, s10, 5
	v_mov_b32_e32 v12, s8
	v_mov_b32_e32 v13, s9
	s_lshl_b64 s[4:5], s[4:5], 1
	s_lshl_b64 s[20:21], s[0:1], 1
	v_mov_b32_e32 v1, 0
	s_lshl_b64 s[22:23], s[2:3], 1
                                        ; implicit-def: $vgpr14
                                        ; implicit-def: $vgpr15
	s_branch .LBB41_3
.LBB41_2:                               ;   in Loop: Header=BB41_3 Depth=1
	s_or_b64 exec, exec, s[0:1]
	s_add_i32 s6, s6, s10
	v_add_u32_e32 v10, s30, v10
	s_cmp_lt_u32 s6, s11
	v_add_u32_e32 v11, s33, v11
	s_cbranch_scc0 .LBB41_11
.LBB41_3:                               ; =>This Inner Loop Header: Depth=1
	s_mul_hi_u32 s0, s14, s6
	s_add_i32 s0, s6, s0
	s_lshr_b32 s34, s0, s15
	s_mul_hi_u32 s0, s34, s12
	s_add_i32 s0, s34, s0
	s_lshr_b32 s3, s0, s13
	s_mul_i32 s0, s3, s26
	s_sub_i32 s0, s34, s0
	s_lshl_b32 s35, s0, 4
	s_mul_i32 s1, s31, s34
	v_or_b32_e32 v0, s35, v7
	v_add_u32_e32 v2, s1, v11
	s_waitcnt lgkmcnt(0)
	v_mad_u64_u32 v[4:5], s[0:1], s3, v12, v[0:1]
	v_mov_b32_e32 v3, v1
	v_mad_u64_u32 v[16:17], s[0:1], v4, s7, v[2:3]
	v_mov_b32_e32 v4, v17
	;; [unrolled: 2-line block ×3, first 2 shown]
	v_cmp_gt_u32_e32 vcc, s8, v0
	v_cmp_gt_u32_e64 s[0:1], s7, v2
	s_and_b64 s[0:1], vcc, s[0:1]
	v_lshlrev_b64 v[4:5], 2, v[16:17]
	s_barrier
	s_and_saveexec_b64 s[24:25], s[0:1]
	s_cbranch_execz .LBB41_5
; %bb.4:                                ;   in Loop: Header=BB41_3 Depth=1
	v_mov_b32_e32 v0, s19
	v_add_co_u32_e64 v16, s[0:1], s18, v4
	v_addc_co_u32_e64 v17, s[0:1], v0, v5, s[0:1]
	global_load_dword v15, v[16:17], off
.LBB41_5:                               ;   in Loop: Header=BB41_3 Depth=1
	s_or_b64 exec, exec, s[24:25]
	v_add_u32_e32 v0, 16, v2
	v_cmp_gt_u32_e64 s[0:1], s7, v0
	s_and_b64 s[24:25], vcc, s[0:1]
	s_and_saveexec_b64 s[0:1], s[24:25]
	s_cbranch_execz .LBB41_7
; %bb.6:                                ;   in Loop: Header=BB41_3 Depth=1
	v_mov_b32_e32 v0, s28
	v_add_co_u32_e32 v2, vcc, s27, v4
	v_addc_co_u32_e32 v3, vcc, v0, v5, vcc
	global_load_dword v14, v[2:3], off
.LBB41_7:                               ;   in Loop: Header=BB41_3 Depth=1
	s_or_b64 exec, exec, s[0:1]
	s_mul_i32 s0, s29, s34
	v_add_u32_e32 v0, s0, v10
	v_or_b32_e32 v2, s35, v6
	v_mad_u64_u32 v[4:5], s[0:1], s3, v13, v[0:1]
	v_mov_b32_e32 v3, v1
	v_mad_u64_u32 v[16:17], s[0:1], v4, s2, v[2:3]
	v_mov_b32_e32 v4, v17
	v_mad_u64_u32 v[4:5], s[0:1], v5, s2, v[4:5]
	s_waitcnt vmcnt(0)
	ds_write_b32 v8, v15
	ds_write_b32 v8, v14 offset:1088
	s_waitcnt lgkmcnt(0)
	s_barrier
	v_mov_b32_e32 v17, v4
	ds_read_b32 v4, v9 offset:1088
	v_cmp_gt_u32_e32 vcc, s8, v2
	v_cmp_gt_u32_e64 s[0:1], s9, v0
	s_and_b64 s[0:1], vcc, s[0:1]
	v_lshlrev_b64 v[2:3], 1, v[16:17]
	s_and_saveexec_b64 s[24:25], s[0:1]
	s_cbranch_execz .LBB41_9
; %bb.8:                                ;   in Loop: Header=BB41_3 Depth=1
	ds_read_b32 v20, v9
	v_mov_b32_e32 v5, s17
	v_add_co_u32_e64 v16, s[0:1], s16, v2
	v_addc_co_u32_e64 v17, s[0:1], v5, v3, s[0:1]
	v_mov_b32_e32 v5, s23
	v_add_co_u32_e64 v18, s[0:1], s22, v16
	v_addc_co_u32_e64 v19, s[0:1], v17, v5, s[0:1]
	s_waitcnt lgkmcnt(0)
	global_store_short v[16:17], v20, off
	global_store_short_d16_hi v[18:19], v20, off
.LBB41_9:                               ;   in Loop: Header=BB41_3 Depth=1
	s_or_b64 exec, exec, s[24:25]
	v_add_u32_e32 v0, 32, v0
	v_cmp_gt_u32_e64 s[0:1], s9, v0
	s_and_b64 s[24:25], vcc, s[0:1]
	s_and_saveexec_b64 s[0:1], s[24:25]
	s_cbranch_execz .LBB41_2
; %bb.10:                               ;   in Loop: Header=BB41_3 Depth=1
	v_mov_b32_e32 v0, s17
	v_add_co_u32_e32 v5, vcc, s16, v2
	v_addc_co_u32_e32 v0, vcc, v0, v3, vcc
	v_mov_b32_e32 v3, s5
	v_add_co_u32_e32 v2, vcc, s4, v5
	v_addc_co_u32_e32 v3, vcc, v0, v3, vcc
	;; [unrolled: 3-line block ×3, first 2 shown]
	s_waitcnt lgkmcnt(0)
	global_store_short v[16:17], v4, off
	global_store_short_d16_hi v[2:3], v4, off
	s_branch .LBB41_2
.LBB41_11:
	s_endpgm
	.section	.rodata,"a",@progbits
	.p2align	6, 0x0
	.amdhsa_kernel batched_transpose_64x16_pack_4x1_ediv_2x1_half
		.amdhsa_group_segment_fixed_size 2176
		.amdhsa_private_segment_fixed_size 0
		.amdhsa_kernarg_size 48
		.amdhsa_user_sgpr_count 6
		.amdhsa_user_sgpr_private_segment_buffer 1
		.amdhsa_user_sgpr_dispatch_ptr 0
		.amdhsa_user_sgpr_queue_ptr 0
		.amdhsa_user_sgpr_kernarg_segment_ptr 1
		.amdhsa_user_sgpr_dispatch_id 0
		.amdhsa_user_sgpr_flat_scratch_init 0
		.amdhsa_user_sgpr_kernarg_preload_length 0
		.amdhsa_user_sgpr_kernarg_preload_offset 0
		.amdhsa_user_sgpr_private_segment_size 0
		.amdhsa_uses_dynamic_stack 0
		.amdhsa_system_sgpr_private_segment_wavefront_offset 0
		.amdhsa_system_sgpr_workgroup_id_x 1
		.amdhsa_system_sgpr_workgroup_id_y 0
		.amdhsa_system_sgpr_workgroup_id_z 0
		.amdhsa_system_sgpr_workgroup_info 0
		.amdhsa_system_vgpr_workitem_id 0
		.amdhsa_next_free_vgpr 21
		.amdhsa_next_free_sgpr 36
		.amdhsa_accum_offset 24
		.amdhsa_reserve_vcc 1
		.amdhsa_reserve_flat_scratch 0
		.amdhsa_float_round_mode_32 0
		.amdhsa_float_round_mode_16_64 0
		.amdhsa_float_denorm_mode_32 3
		.amdhsa_float_denorm_mode_16_64 3
		.amdhsa_dx10_clamp 1
		.amdhsa_ieee_mode 1
		.amdhsa_fp16_overflow 0
		.amdhsa_tg_split 0
		.amdhsa_exception_fp_ieee_invalid_op 0
		.amdhsa_exception_fp_denorm_src 0
		.amdhsa_exception_fp_ieee_div_zero 0
		.amdhsa_exception_fp_ieee_overflow 0
		.amdhsa_exception_fp_ieee_underflow 0
		.amdhsa_exception_fp_ieee_inexact 0
		.amdhsa_exception_int_div_zero 0
	.end_amdhsa_kernel
	.text
.Lfunc_end41:
	.size	batched_transpose_64x16_pack_4x1_ediv_2x1_half, .Lfunc_end41-batched_transpose_64x16_pack_4x1_ediv_2x1_half
                                        ; -- End function
	.section	.AMDGPU.csdata,"",@progbits
; Kernel info:
; codeLenInByte = 700
; NumSgprs: 40
; NumVgprs: 21
; NumAgprs: 0
; TotalNumVgprs: 21
; ScratchSize: 0
; MemoryBound: 0
; FloatMode: 240
; IeeeMode: 1
; LDSByteSize: 2176 bytes/workgroup (compile time only)
; SGPRBlocks: 4
; VGPRBlocks: 2
; NumSGPRsForWavesPerEU: 40
; NumVGPRsForWavesPerEU: 21
; AccumOffset: 24
; Occupancy: 8
; WaveLimiterHint : 0
; COMPUTE_PGM_RSRC2:SCRATCH_EN: 0
; COMPUTE_PGM_RSRC2:USER_SGPR: 6
; COMPUTE_PGM_RSRC2:TRAP_HANDLER: 0
; COMPUTE_PGM_RSRC2:TGID_X_EN: 1
; COMPUTE_PGM_RSRC2:TGID_Y_EN: 0
; COMPUTE_PGM_RSRC2:TGID_Z_EN: 0
; COMPUTE_PGM_RSRC2:TIDIG_COMP_CNT: 0
; COMPUTE_PGM_RSRC3_GFX90A:ACCUM_OFFSET: 5
; COMPUTE_PGM_RSRC3_GFX90A:TG_SPLIT: 0
	.text
	.protected	batched_transpose_64x64_pack_4x4_ediv_4x4_half ; -- Begin function batched_transpose_64x64_pack_4x4_ediv_4x4_half
	.globl	batched_transpose_64x64_pack_4x4_ediv_4x4_half
	.p2align	8
	.type	batched_transpose_64x64_pack_4x4_ediv_4x4_half,@function
batched_transpose_64x64_pack_4x4_ediv_4x4_half: ; @batched_transpose_64x64_pack_4x4_ediv_4x4_half
; %bb.0:
	s_load_dwordx8 s[8:15], s[4:5], 0x10
	s_waitcnt lgkmcnt(0)
	s_cmp_ge_u32 s6, s11
	s_cbranch_scc1 .LBB42_7
; %bb.1:
	s_load_dwordx4 s[16:19], s[4:5], 0x0
	s_add_i32 s20, s9, 63
	v_and_b32_e32 v12, 15, v0
	s_lshr_b32 s2, s8, 2
	s_lshr_b32 s4, s9, 2
	s_add_i32 s0, s8, 63
	s_mov_b32 s5, 0
	v_lshrrev_b32_e32 v0, 4, v0
	v_mul_u32_u24_e32 v1, 17, v12
	s_and_b32 s21, s20, 0xffffffc0
	s_lshr_b32 s20, s20, 2
	s_lshr_b32 s7, s0, 6
	v_lshlrev_b32_e32 v13, 2, v0
	s_lshl_b32 s0, s4, 1
	s_mov_b32 s1, s5
	s_mul_i32 s24, s4, 3
	s_mov_b32 s25, s5
	v_add_lshl_u32 v14, v1, v0, 4
	v_mul_u32_u24_e32 v0, 17, v0
	s_mov_b32 s3, s5
	s_lshl_b32 s28, s2, 1
	s_mov_b32 s29, s5
	s_mul_i32 s30, s2, 3
	s_mov_b32 s31, s5
	s_and_b32 s20, s20, 0x3ffffff0
	v_add_lshl_u32 v15, v0, v12, 4
	s_mov_b32 s33, s9
	s_sub_i32 s34, 0, s21
	v_lshl_or_b32 v16, s6, 6, v13
	s_lshl_b32 s35, s10, 6
	s_sub_i32 s36, 0, s20
	v_lshl_or_b32 v17, s6, 4, v12
	s_lshl_b32 s37, s10, 4
	s_lshl_b64 s[20:21], s[4:5], 3
	s_lshl_b64 s[22:23], s[0:1], 3
	;; [unrolled: 1-line block ×3, first 2 shown]
	s_mov_b32 s5, 0xffff0000
	s_mov_b32 s38, 0x3020706
	s_lshl_b64 s[26:27], s[2:3], 3
	s_lshl_b64 s[28:29], s[28:29], 3
	s_lshl_b64 s[30:31], s[30:31], 3
	v_mov_b32_e32 v1, 0
                                        ; implicit-def: $vgpr8_vgpr9
                                        ; implicit-def: $vgpr2_vgpr3
                                        ; implicit-def: $vgpr4_vgpr5
                                        ; implicit-def: $vgpr6_vgpr7
	s_branch .LBB42_3
.LBB42_2:                               ;   in Loop: Header=BB42_3 Depth=1
	s_or_b64 exec, exec, s[0:1]
	s_add_i32 s6, s6, s10
	v_add_u32_e32 v16, s35, v16
	s_cmp_lt_u32 s6, s11
	v_add_u32_e32 v17, s37, v17
	s_cbranch_scc0 .LBB42_7
.LBB42_3:                               ; =>This Inner Loop Header: Depth=1
	s_mul_hi_u32 s0, s14, s6
	s_add_i32 s0, s6, s0
	s_lshr_b32 s39, s0, s15
	s_mul_hi_u32 s0, s39, s12
	s_add_i32 s0, s39, s0
	s_lshr_b32 s3, s0, s13
	s_mul_i32 s0, s3, s7
	s_sub_i32 s40, s39, s0
	s_mul_i32 s0, s36, s39
	v_add_u32_e32 v10, s0, v17
	v_lshl_or_b32 v0, s40, 6, v13
	v_cmp_gt_u32_e32 vcc, s8, v0
	v_cmp_gt_u32_e64 s[0:1], s4, v10
	s_and_b64 s[42:43], vcc, s[0:1]
	s_waitcnt lgkmcnt(0)
	s_barrier
	s_and_saveexec_b64 s[0:1], s[42:43]
	s_cbranch_execz .LBB42_5
; %bb.4:                                ;   in Loop: Header=BB42_3 Depth=1
	v_mov_b32_e32 v2, s8
	v_mad_u64_u32 v[2:3], s[42:43], s3, v2, v[0:1]
	v_mad_u64_u32 v[4:5], s[42:43], v2, s4, 0
	v_mov_b32_e32 v0, v5
	v_mad_u64_u32 v[2:3], s[42:43], v3, s4, v[0:1]
	v_mov_b32_e32 v5, v2
	v_lshlrev_b64 v[2:3], 3, v[4:5]
	v_mov_b32_e32 v11, v1
	v_mov_b32_e32 v0, s19
	v_add_co_u32_e32 v4, vcc, s18, v2
	v_addc_co_u32_e32 v0, vcc, v0, v3, vcc
	v_lshlrev_b64 v[2:3], 3, v[10:11]
	v_add_co_u32_e32 v10, vcc, v4, v2
	v_addc_co_u32_e32 v11, vcc, v0, v3, vcc
	v_mov_b32_e32 v0, s21
	v_add_co_u32_e32 v18, vcc, s20, v10
	v_addc_co_u32_e32 v19, vcc, v11, v0, vcc
	v_mov_b32_e32 v0, s23
	;; [unrolled: 3-line block ×3, first 2 shown]
	v_add_co_u32_e32 v22, vcc, s24, v10
	v_addc_co_u32_e32 v23, vcc, v11, v0, vcc
	global_load_dwordx2 v[6:7], v[10:11], off
	global_load_dwordx2 v[4:5], v[18:19], off
	;; [unrolled: 1-line block ×4, first 2 shown]
.LBB42_5:                               ;   in Loop: Header=BB42_3 Depth=1
	s_or_b64 exec, exec, s[0:1]
	s_waitcnt vmcnt(3)
	v_and_b32_e32 v0, 0xffff, v6
	s_waitcnt vmcnt(2)
	v_lshl_or_b32 v18, v4, 16, v0
	v_lshrrev_b32_e32 v0, 16, v6
	v_and_or_b32 v20, v4, s5, v0
	v_and_b32_e32 v0, 0xffff, v7
	v_lshl_or_b32 v22, v5, 16, v0
	s_waitcnt vmcnt(1)
	v_and_b32_e32 v0, 0xffff, v2
	s_waitcnt vmcnt(0)
	v_lshl_or_b32 v19, v8, 16, v0
	v_lshrrev_b32_e32 v0, 16, v2
	v_and_or_b32 v21, v8, s5, v0
	v_and_b32_e32 v0, 0xffff, v3
	s_mul_i32 s0, s34, s39
	v_lshl_or_b32 v23, v9, 16, v0
	v_lshl_or_b32 v10, s40, 4, v12
	v_add_u32_e32 v0, s0, v16
	v_cmp_gt_u32_e32 vcc, s2, v10
	v_cmp_gt_u32_e64 s[0:1], s9, v0
	s_and_b64 s[40:41], s[0:1], vcc
	v_perm_b32 v24, v7, v5, s38
	v_perm_b32 v25, v3, v9, s38
	ds_write_b128 v14, v[18:21]
	ds_write_b128 v14, v[22:25] offset:4352
	s_waitcnt lgkmcnt(0)
	s_barrier
	s_and_saveexec_b64 s[0:1], s[40:41]
	s_cbranch_execz .LBB42_2
; %bb.6:                                ;   in Loop: Header=BB42_3 Depth=1
	v_mov_b32_e32 v11, s33
	v_mad_u64_u32 v[18:19], s[40:41], s3, v11, v[0:1]
	v_mad_u64_u32 v[20:21], s[40:41], v18, s2, 0
	v_mov_b32_e32 v0, v21
	v_mad_u64_u32 v[18:19], s[40:41], v19, s2, v[0:1]
	v_mov_b32_e32 v21, v18
	v_lshlrev_b64 v[18:19], 3, v[20:21]
	v_mov_b32_e32 v0, s17
	v_add_co_u32_e32 v22, vcc, s16, v18
	v_addc_co_u32_e32 v0, vcc, v0, v19, vcc
	ds_read_b128 v[18:21], v15
	v_mov_b32_e32 v11, v1
	v_lshlrev_b64 v[10:11], 3, v[10:11]
	v_add_co_u32_e32 v10, vcc, v22, v10
	ds_read_b128 v[22:25], v15 offset:4352
	v_addc_co_u32_e32 v11, vcc, v0, v11, vcc
	s_waitcnt lgkmcnt(1)
	global_store_dwordx2 v[10:11], v[18:19], off
	v_mov_b32_e32 v0, s27
	v_add_co_u32_e32 v18, vcc, s26, v10
	v_addc_co_u32_e32 v19, vcc, v11, v0, vcc
	global_store_dwordx2 v[18:19], v[20:21], off
	v_mov_b32_e32 v0, s29
	v_add_co_u32_e32 v18, vcc, s28, v10
	v_addc_co_u32_e32 v19, vcc, v11, v0, vcc
	v_mov_b32_e32 v0, s31
	v_add_co_u32_e32 v10, vcc, s30, v10
	v_addc_co_u32_e32 v11, vcc, v11, v0, vcc
	s_waitcnt lgkmcnt(0)
	global_store_dwordx2 v[18:19], v[22:23], off
	global_store_dwordx2 v[10:11], v[24:25], off
	s_branch .LBB42_2
.LBB42_7:
	s_endpgm
	.section	.rodata,"a",@progbits
	.p2align	6, 0x0
	.amdhsa_kernel batched_transpose_64x64_pack_4x4_ediv_4x4_half
		.amdhsa_group_segment_fixed_size 8704
		.amdhsa_private_segment_fixed_size 0
		.amdhsa_kernarg_size 48
		.amdhsa_user_sgpr_count 6
		.amdhsa_user_sgpr_private_segment_buffer 1
		.amdhsa_user_sgpr_dispatch_ptr 0
		.amdhsa_user_sgpr_queue_ptr 0
		.amdhsa_user_sgpr_kernarg_segment_ptr 1
		.amdhsa_user_sgpr_dispatch_id 0
		.amdhsa_user_sgpr_flat_scratch_init 0
		.amdhsa_user_sgpr_kernarg_preload_length 0
		.amdhsa_user_sgpr_kernarg_preload_offset 0
		.amdhsa_user_sgpr_private_segment_size 0
		.amdhsa_uses_dynamic_stack 0
		.amdhsa_system_sgpr_private_segment_wavefront_offset 0
		.amdhsa_system_sgpr_workgroup_id_x 1
		.amdhsa_system_sgpr_workgroup_id_y 0
		.amdhsa_system_sgpr_workgroup_id_z 0
		.amdhsa_system_sgpr_workgroup_info 0
		.amdhsa_system_vgpr_workitem_id 0
		.amdhsa_next_free_vgpr 26
		.amdhsa_next_free_sgpr 44
		.amdhsa_accum_offset 28
		.amdhsa_reserve_vcc 1
		.amdhsa_reserve_flat_scratch 0
		.amdhsa_float_round_mode_32 0
		.amdhsa_float_round_mode_16_64 0
		.amdhsa_float_denorm_mode_32 3
		.amdhsa_float_denorm_mode_16_64 3
		.amdhsa_dx10_clamp 1
		.amdhsa_ieee_mode 1
		.amdhsa_fp16_overflow 0
		.amdhsa_tg_split 0
		.amdhsa_exception_fp_ieee_invalid_op 0
		.amdhsa_exception_fp_denorm_src 0
		.amdhsa_exception_fp_ieee_div_zero 0
		.amdhsa_exception_fp_ieee_overflow 0
		.amdhsa_exception_fp_ieee_underflow 0
		.amdhsa_exception_fp_ieee_inexact 0
		.amdhsa_exception_int_div_zero 0
	.end_amdhsa_kernel
	.text
.Lfunc_end42:
	.size	batched_transpose_64x64_pack_4x4_ediv_4x4_half, .Lfunc_end42-batched_transpose_64x64_pack_4x4_ediv_4x4_half
                                        ; -- End function
	.section	.AMDGPU.csdata,"",@progbits
; Kernel info:
; codeLenInByte = 840
; NumSgprs: 48
; NumVgprs: 26
; NumAgprs: 0
; TotalNumVgprs: 26
; ScratchSize: 0
; MemoryBound: 0
; FloatMode: 240
; IeeeMode: 1
; LDSByteSize: 8704 bytes/workgroup (compile time only)
; SGPRBlocks: 5
; VGPRBlocks: 3
; NumSGPRsForWavesPerEU: 48
; NumVGPRsForWavesPerEU: 26
; AccumOffset: 28
; Occupancy: 7
; WaveLimiterHint : 0
; COMPUTE_PGM_RSRC2:SCRATCH_EN: 0
; COMPUTE_PGM_RSRC2:USER_SGPR: 6
; COMPUTE_PGM_RSRC2:TRAP_HANDLER: 0
; COMPUTE_PGM_RSRC2:TGID_X_EN: 1
; COMPUTE_PGM_RSRC2:TGID_Y_EN: 0
; COMPUTE_PGM_RSRC2:TGID_Z_EN: 0
; COMPUTE_PGM_RSRC2:TIDIG_COMP_CNT: 0
; COMPUTE_PGM_RSRC3_GFX90A:ACCUM_OFFSET: 6
; COMPUTE_PGM_RSRC3_GFX90A:TG_SPLIT: 0
	.text
	.protected	batched_transpose_64x64_pack_4x4_ediv_2x2_half ; -- Begin function batched_transpose_64x64_pack_4x4_ediv_2x2_half
	.globl	batched_transpose_64x64_pack_4x4_ediv_2x2_half
	.p2align	8
	.type	batched_transpose_64x64_pack_4x4_ediv_2x2_half,@function
batched_transpose_64x64_pack_4x4_ediv_2x2_half: ; @batched_transpose_64x64_pack_4x4_ediv_2x2_half
; %bb.0:
	s_load_dwordx8 s[8:15], s[4:5], 0x10
	s_waitcnt lgkmcnt(0)
	s_cmp_ge_u32 s6, s11
	s_cbranch_scc1 .LBB43_19
; %bb.1:
	s_load_dwordx4 s[16:19], s[4:5], 0x0
	s_add_i32 s26, s9, 63
	v_and_b32_e32 v20, 15, v0
	s_lshr_b32 s20, s9, 1
	s_add_i32 s0, s8, 63
	s_mov_b32 s21, 0
	v_lshrrev_b32_e32 v0, 4, v0
	v_mul_u32_u24_e32 v1, 17, v20
	s_and_b32 s27, s26, 0xffffffc0
	s_lshr_b32 s26, s26, 1
	s_lshr_b32 s4, s8, 1
	;; [unrolled: 1-line block ×3, first 2 shown]
	v_lshlrev_b32_e32 v21, 1, v0
	s_lshl_b32 s0, s20, 5
	s_mov_b32 s1, s21
	s_mul_i32 s2, s20, 33
	s_mov_b32 s3, s21
	v_add_lshl_u32 v22, v1, v0, 4
	v_mul_u32_u24_e32 v0, 17, v0
	s_and_b32 s26, s26, 0x7fffffe0
	s_mov_b32 s33, s9
	s_mov_b32 s5, s21
	v_add_lshl_u32 v23, v0, v20, 4
	s_lshl_b32 s22, s4, 5
	s_mov_b32 s23, s21
	s_mul_i32 s24, s4, 33
	s_mov_b32 s25, s21
	s_sub_i32 s36, 0, s27
	v_lshl_or_b32 v24, s6, 6, v21
	s_lshl_b32 s37, s10, 6
	s_sub_i32 s38, 0, s26
	v_lshl_or_b32 v25, s6, 5, v20
	s_lshl_b32 s39, s10, 5
	v_mov_b32_e32 v26, s8
	s_lshl_b64 s[26:27], s[20:21], 2
	s_lshl_b64 s[28:29], s[2:3], 2
	s_mov_b32 s21, 0xffff0000
	v_mov_b32_e32 v13, 0
	s_lshl_b64 s[30:31], s[0:1], 2
                                        ; implicit-def: $vgpr0_vgpr1_vgpr2_vgpr3_vgpr4_vgpr5_vgpr6_vgpr7
	s_branch .LBB43_3
.LBB43_2:                               ;   in Loop: Header=BB43_3 Depth=1
	s_or_b64 exec, exec, s[0:1]
	s_add_i32 s6, s6, s10
	v_add_u32_e32 v24, s37, v24
	s_cmp_lt_u32 s6, s11
	v_add_u32_e32 v25, s39, v25
	s_cbranch_scc0 .LBB43_19
.LBB43_3:                               ; =>This Inner Loop Header: Depth=1
	s_mul_hi_u32 s0, s14, s6
	s_add_i32 s0, s6, s0
	s_lshr_b32 s41, s0, s15
	s_mul_hi_u32 s0, s41, s12
	s_add_i32 s0, s41, s0
	s_lshr_b32 s40, s0, s13
	s_mul_i32 s0, s40, s7
	s_sub_i32 s42, s41, s0
	s_mul_i32 s0, s38, s41
	v_lshl_or_b32 v12, s42, 6, v21
	s_waitcnt lgkmcnt(0)
	v_add_u32_e32 v10, s0, v25
	v_mad_u64_u32 v[8:9], s[0:1], s40, v26, v[12:13]
	v_mov_b32_e32 v11, v13
	v_mad_u64_u32 v[14:15], s[0:1], v8, s20, v[10:11]
	v_mov_b32_e32 v8, v15
	;; [unrolled: 2-line block ×3, first 2 shown]
	v_cmp_gt_u32_e64 s[2:3], s8, v12
	v_cmp_gt_u32_e64 s[0:1], s20, v10
	s_and_b64 s[44:45], s[2:3], s[0:1]
	v_lshlrev_b64 v[8:9], 2, v[14:15]
	s_waitcnt lgkmcnt(0)
	s_barrier
	s_and_saveexec_b64 s[34:35], s[44:45]
	s_cbranch_execz .LBB43_5
; %bb.4:                                ;   in Loop: Header=BB43_3 Depth=1
	v_mov_b32_e32 v0, s19
	v_add_co_u32_e32 v14, vcc, s18, v8
	v_addc_co_u32_e32 v15, vcc, v0, v9, vcc
	v_mov_b32_e32 v0, s27
	v_add_co_u32_e32 v16, vcc, s26, v14
	v_addc_co_u32_e32 v17, vcc, v15, v0, vcc
	global_load_dword v0, v[14:15], off
	global_load_dword v2, v[16:17], off
.LBB43_5:                               ;   in Loop: Header=BB43_3 Depth=1
	s_or_b64 exec, exec, s[34:35]
	v_add_u32_e32 v10, 16, v10
	v_cmp_gt_u32_e32 vcc, s20, v10
	s_and_b64 s[2:3], s[2:3], vcc
	s_and_saveexec_b64 s[34:35], s[2:3]
	s_cbranch_execz .LBB43_7
; %bb.6:                                ;   in Loop: Header=BB43_3 Depth=1
	v_mov_b32_e32 v1, s19
	v_add_co_u32_e64 v10, s[2:3], s18, v8
	v_addc_co_u32_e64 v11, s[2:3], v1, v9, s[2:3]
	v_mov_b32_e32 v1, s27
	v_add_co_u32_e64 v14, s[2:3], s26, v10
	v_addc_co_u32_e64 v15, s[2:3], v11, v1, s[2:3]
	global_load_dword v1, v[10:11], off offset:64
	global_load_dword v3, v[14:15], off offset:64
.LBB43_7:                               ;   in Loop: Header=BB43_3 Depth=1
	s_or_b64 exec, exec, s[34:35]
	v_add_u32_e32 v10, 32, v12
	v_cmp_gt_u32_e64 s[2:3], s8, v10
	s_and_b64 s[0:1], s[2:3], s[0:1]
	s_and_saveexec_b64 s[34:35], s[0:1]
	s_cbranch_execz .LBB43_9
; %bb.8:                                ;   in Loop: Header=BB43_3 Depth=1
	v_mov_b32_e32 v4, s19
	v_add_co_u32_e64 v6, s[0:1], s18, v8
	v_addc_co_u32_e64 v4, s[0:1], v4, v9, s[0:1]
	v_mov_b32_e32 v11, s29
	v_add_co_u32_e64 v10, s[0:1], s28, v6
	v_addc_co_u32_e64 v11, s[0:1], v4, v11, s[0:1]
	;; [unrolled: 3-line block ×3, first 2 shown]
	global_load_dword v4, v[14:15], off
	global_load_dword v6, v[10:11], off
.LBB43_9:                               ;   in Loop: Header=BB43_3 Depth=1
	s_or_b64 exec, exec, s[34:35]
	s_and_b64 s[2:3], s[2:3], vcc
	s_and_saveexec_b64 s[0:1], s[2:3]
	s_cbranch_execz .LBB43_11
; %bb.10:                               ;   in Loop: Header=BB43_3 Depth=1
	v_mov_b32_e32 v5, s19
	v_add_co_u32_e32 v7, vcc, s18, v8
	v_addc_co_u32_e32 v5, vcc, v5, v9, vcc
	v_mov_b32_e32 v9, s29
	v_add_co_u32_e32 v8, vcc, s28, v7
	v_addc_co_u32_e32 v9, vcc, v5, v9, vcc
	;; [unrolled: 3-line block ×3, first 2 shown]
	global_load_dword v5, v[10:11], off offset:64
	global_load_dword v7, v[8:9], off offset:64
.LBB43_11:                              ;   in Loop: Header=BB43_3 Depth=1
	s_or_b64 exec, exec, s[0:1]
	s_waitcnt vmcnt(1)
	v_lshrrev_b32_e32 v9, 16, v0
	s_waitcnt vmcnt(0)
	v_and_or_b32 v10, v2, s21, v9
	v_and_b32_e32 v9, 0xffff, v1
	v_lshl_or_b32 v14, v3, 16, v9
	v_lshrrev_b32_e32 v9, 16, v1
	v_and_b32_e32 v8, 0xffff, v0
	v_and_or_b32 v16, v3, s21, v9
	v_and_b32_e32 v9, 0xffff, v4
	v_lshrrev_b32_e32 v11, 16, v4
	v_and_b32_e32 v12, 0xffff, v5
	v_lshl_or_b32 v8, v2, 16, v8
	v_lshl_or_b32 v9, v6, 16, v9
	v_and_or_b32 v11, v6, s21, v11
	v_lshl_or_b32 v15, v7, 16, v12
	v_lshrrev_b32_e32 v12, 16, v5
	s_mul_i32 s0, s36, s41
	v_and_or_b32 v17, v7, s21, v12
	ds_write_b128 v22, v[8:11]
	ds_write_b128 v22, v[14:17] offset:4352
	v_add_u32_e32 v12, s0, v24
	v_mov_b32_e32 v8, s33
	v_lshl_or_b32 v18, s42, 5, v20
	v_mad_u64_u32 v[8:9], s[0:1], s40, v8, v[12:13]
	v_mov_b32_e32 v19, v13
	v_mad_u64_u32 v[14:15], s[0:1], v8, s4, v[18:19]
	v_mov_b32_e32 v8, v15
	v_mad_u64_u32 v[8:9], s[0:1], v9, s4, v[8:9]
	s_waitcnt lgkmcnt(0)
	s_barrier
	v_mov_b32_e32 v15, v8
	ds_read2_b32 v[16:17], v23 offset0:1 offset1:3
	ds_read_b128 v[8:11], v23 offset:4352
	v_cmp_gt_u32_e32 vcc, s4, v18
	v_cmp_gt_u32_e64 s[2:3], s9, v12
	s_and_b64 s[0:1], vcc, s[2:3]
	v_lshlrev_b64 v[14:15], 2, v[14:15]
	s_and_saveexec_b64 s[34:35], s[0:1]
	s_cbranch_execz .LBB43_13
; %bb.12:                               ;   in Loop: Header=BB43_3 Depth=1
	ds_read2_b32 v[30:31], v23 offset1:2
	v_mov_b32_e32 v19, s17
	v_add_co_u32_e64 v28, s[0:1], s16, v14
	v_addc_co_u32_e64 v29, s[0:1], v19, v15, s[0:1]
	s_lshl_b64 s[0:1], s[4:5], 2
	v_mov_b32_e32 v19, s1
	v_add_co_u32_e64 v32, s[0:1], s0, v28
	v_addc_co_u32_e64 v33, s[0:1], v29, v19, s[0:1]
	s_waitcnt lgkmcnt(0)
	global_store_dword v[28:29], v30, off
	global_store_dword v[32:33], v31, off
.LBB43_13:                              ;   in Loop: Header=BB43_3 Depth=1
	s_or_b64 exec, exec, s[34:35]
	v_or_b32_e32 v18, 16, v18
	v_cmp_gt_u32_e64 s[0:1], s4, v18
	s_and_b64 s[2:3], s[0:1], s[2:3]
	s_and_saveexec_b64 s[34:35], s[2:3]
	s_cbranch_execz .LBB43_15
; %bb.14:                               ;   in Loop: Header=BB43_3 Depth=1
	v_mov_b32_e32 v19, s17
	v_add_co_u32_e64 v18, s[2:3], s16, v14
	v_addc_co_u32_e64 v19, s[2:3], v19, v15, s[2:3]
	s_lshl_b64 s[2:3], s[4:5], 2
	v_mov_b32_e32 v27, s3
	v_add_co_u32_e64 v28, s[2:3], s2, v18
	v_addc_co_u32_e64 v29, s[2:3], v19, v27, s[2:3]
	s_waitcnt lgkmcnt(1)
	global_store_dword v[18:19], v16, off offset:64
	global_store_dword v[28:29], v17, off offset:64
.LBB43_15:                              ;   in Loop: Header=BB43_3 Depth=1
	s_or_b64 exec, exec, s[34:35]
	v_add_u32_e32 v12, 32, v12
	v_cmp_gt_u32_e64 s[2:3], s9, v12
	s_and_b64 s[40:41], vcc, s[2:3]
	s_and_saveexec_b64 s[34:35], s[40:41]
	s_cbranch_execz .LBB43_17
; %bb.16:                               ;   in Loop: Header=BB43_3 Depth=1
	v_mov_b32_e32 v12, s17
	v_add_co_u32_e32 v18, vcc, s16, v14
	v_addc_co_u32_e32 v12, vcc, v12, v15, vcc
	s_lshl_b64 s[40:41], s[24:25], 2
	s_waitcnt lgkmcnt(1)
	v_mov_b32_e32 v17, s41
	v_add_co_u32_e32 v16, vcc, s40, v18
	v_addc_co_u32_e32 v17, vcc, v12, v17, vcc
	s_lshl_b64 s[40:41], s[22:23], 2
	v_mov_b32_e32 v19, s41
	v_add_co_u32_e32 v18, vcc, s40, v18
	v_addc_co_u32_e32 v19, vcc, v12, v19, vcc
	s_waitcnt lgkmcnt(0)
	global_store_dword v[18:19], v8, off
	global_store_dword v[16:17], v10, off
.LBB43_17:                              ;   in Loop: Header=BB43_3 Depth=1
	s_or_b64 exec, exec, s[34:35]
	s_and_b64 s[2:3], s[0:1], s[2:3]
	s_and_saveexec_b64 s[0:1], s[2:3]
	s_cbranch_execz .LBB43_2
; %bb.18:                               ;   in Loop: Header=BB43_3 Depth=1
	s_waitcnt lgkmcnt(0)
	v_mov_b32_e32 v8, s17
	v_add_co_u32_e32 v10, vcc, s16, v14
	v_addc_co_u32_e32 v8, vcc, v8, v15, vcc
	s_lshl_b64 s[2:3], s[24:25], 2
	v_mov_b32_e32 v12, s3
	v_add_co_u32_e32 v14, vcc, s2, v10
	v_addc_co_u32_e32 v15, vcc, v8, v12, vcc
	s_lshl_b64 s[2:3], s[22:23], 2
	v_mov_b32_e32 v12, s3
	v_add_co_u32_e32 v16, vcc, s2, v10
	v_addc_co_u32_e32 v17, vcc, v8, v12, vcc
	global_store_dword v[16:17], v9, off offset:64
	global_store_dword v[14:15], v11, off offset:64
	s_branch .LBB43_2
.LBB43_19:
	s_endpgm
	.section	.rodata,"a",@progbits
	.p2align	6, 0x0
	.amdhsa_kernel batched_transpose_64x64_pack_4x4_ediv_2x2_half
		.amdhsa_group_segment_fixed_size 8704
		.amdhsa_private_segment_fixed_size 0
		.amdhsa_kernarg_size 48
		.amdhsa_user_sgpr_count 6
		.amdhsa_user_sgpr_private_segment_buffer 1
		.amdhsa_user_sgpr_dispatch_ptr 0
		.amdhsa_user_sgpr_queue_ptr 0
		.amdhsa_user_sgpr_kernarg_segment_ptr 1
		.amdhsa_user_sgpr_dispatch_id 0
		.amdhsa_user_sgpr_flat_scratch_init 0
		.amdhsa_user_sgpr_kernarg_preload_length 0
		.amdhsa_user_sgpr_kernarg_preload_offset 0
		.amdhsa_user_sgpr_private_segment_size 0
		.amdhsa_uses_dynamic_stack 0
		.amdhsa_system_sgpr_private_segment_wavefront_offset 0
		.amdhsa_system_sgpr_workgroup_id_x 1
		.amdhsa_system_sgpr_workgroup_id_y 0
		.amdhsa_system_sgpr_workgroup_id_z 0
		.amdhsa_system_sgpr_workgroup_info 0
		.amdhsa_system_vgpr_workitem_id 0
		.amdhsa_next_free_vgpr 34
		.amdhsa_next_free_sgpr 46
		.amdhsa_accum_offset 36
		.amdhsa_reserve_vcc 1
		.amdhsa_reserve_flat_scratch 0
		.amdhsa_float_round_mode_32 0
		.amdhsa_float_round_mode_16_64 0
		.amdhsa_float_denorm_mode_32 3
		.amdhsa_float_denorm_mode_16_64 3
		.amdhsa_dx10_clamp 1
		.amdhsa_ieee_mode 1
		.amdhsa_fp16_overflow 0
		.amdhsa_tg_split 0
		.amdhsa_exception_fp_ieee_invalid_op 0
		.amdhsa_exception_fp_denorm_src 0
		.amdhsa_exception_fp_ieee_div_zero 0
		.amdhsa_exception_fp_ieee_overflow 0
		.amdhsa_exception_fp_ieee_underflow 0
		.amdhsa_exception_fp_ieee_inexact 0
		.amdhsa_exception_int_div_zero 0
	.end_amdhsa_kernel
	.text
.Lfunc_end43:
	.size	batched_transpose_64x64_pack_4x4_ediv_2x2_half, .Lfunc_end43-batched_transpose_64x64_pack_4x4_ediv_2x2_half
                                        ; -- End function
	.section	.AMDGPU.csdata,"",@progbits
; Kernel info:
; codeLenInByte = 1260
; NumSgprs: 50
; NumVgprs: 34
; NumAgprs: 0
; TotalNumVgprs: 34
; ScratchSize: 0
; MemoryBound: 0
; FloatMode: 240
; IeeeMode: 1
; LDSByteSize: 8704 bytes/workgroup (compile time only)
; SGPRBlocks: 6
; VGPRBlocks: 4
; NumSGPRsForWavesPerEU: 50
; NumVGPRsForWavesPerEU: 34
; AccumOffset: 36
; Occupancy: 7
; WaveLimiterHint : 0
; COMPUTE_PGM_RSRC2:SCRATCH_EN: 0
; COMPUTE_PGM_RSRC2:USER_SGPR: 6
; COMPUTE_PGM_RSRC2:TRAP_HANDLER: 0
; COMPUTE_PGM_RSRC2:TGID_X_EN: 1
; COMPUTE_PGM_RSRC2:TGID_Y_EN: 0
; COMPUTE_PGM_RSRC2:TGID_Z_EN: 0
; COMPUTE_PGM_RSRC2:TIDIG_COMP_CNT: 0
; COMPUTE_PGM_RSRC3_GFX90A:ACCUM_OFFSET: 8
; COMPUTE_PGM_RSRC3_GFX90A:TG_SPLIT: 0
	.text
	.p2alignl 6, 3212836864
	.fill 256, 4, 3212836864
	.type	__hip_cuid_29dbef5846cdc017,@object ; @__hip_cuid_29dbef5846cdc017
	.section	.bss,"aw",@nobits
	.globl	__hip_cuid_29dbef5846cdc017
__hip_cuid_29dbef5846cdc017:
	.byte	0                               ; 0x0
	.size	__hip_cuid_29dbef5846cdc017, 1

	.ident	"AMD clang version 19.0.0git (https://github.com/RadeonOpenCompute/llvm-project roc-6.4.0 25133 c7fe45cf4b819c5991fe208aaa96edf142730f1d)"
	.section	".note.GNU-stack","",@progbits
	.addrsig
	.addrsig_sym __hip_cuid_29dbef5846cdc017
	.amdgpu_metadata
---
amdhsa.kernels:
  - .agpr_count:     0
    .args:
      - .address_space:  global
        .offset:         0
        .size:           8
        .value_kind:     global_buffer
      - .address_space:  global
        .offset:         8
        .size:           8
        .value_kind:     global_buffer
      - .offset:         16
        .size:           4
        .value_kind:     by_value
      - .offset:         20
        .size:           4
        .value_kind:     by_value
      - .offset:         24
        .size:           4
        .value_kind:     by_value
      - .offset:         28
        .size:           4
        .value_kind:     by_value
      - .offset:         32
        .size:           4
        .value_kind:     by_value
      - .offset:         36
        .size:           4
        .value_kind:     by_value
      - .offset:         40
        .size:           4
        .value_kind:     by_value
      - .offset:         44
        .size:           4
        .value_kind:     by_value
    .group_segment_fixed_size: 1088
    .kernarg_segment_align: 8
    .kernarg_segment_size: 48
    .language:       OpenCL C
    .language_version:
      - 2
      - 0
    .max_flat_workgroup_size: 256
    .name:           batched_transpose_16x16_dword
    .private_segment_fixed_size: 0
    .sgpr_count:     30
    .sgpr_spill_count: 0
    .symbol:         batched_transpose_16x16_dword.kd
    .uniform_work_group_size: 1
    .uses_dynamic_stack: false
    .vgpr_count:     12
    .vgpr_spill_count: 0
    .wavefront_size: 64
  - .agpr_count:     0
    .args:
      - .address_space:  global
        .offset:         0
        .size:           8
        .value_kind:     global_buffer
      - .address_space:  global
        .offset:         8
        .size:           8
        .value_kind:     global_buffer
      - .offset:         16
        .size:           4
        .value_kind:     by_value
      - .offset:         20
        .size:           4
        .value_kind:     by_value
      - .offset:         24
        .size:           4
        .value_kind:     by_value
      - .offset:         28
        .size:           4
        .value_kind:     by_value
      - .offset:         32
        .size:           4
        .value_kind:     by_value
      - .offset:         36
        .size:           4
        .value_kind:     by_value
      - .offset:         40
        .size:           4
        .value_kind:     by_value
      - .offset:         44
        .size:           4
        .value_kind:     by_value
    .group_segment_fixed_size: 576
    .kernarg_segment_align: 8
    .kernarg_segment_size: 48
    .language:       OpenCL C
    .language_version:
      - 2
      - 0
    .max_flat_workgroup_size: 256
    .name:           batched_transpose_16x16_half
    .private_segment_fixed_size: 0
    .sgpr_count:     30
    .sgpr_spill_count: 0
    .symbol:         batched_transpose_16x16_half.kd
    .uniform_work_group_size: 1
    .uses_dynamic_stack: false
    .vgpr_count:     12
    .vgpr_spill_count: 0
    .wavefront_size: 64
  - .agpr_count:     0
    .args:
      - .address_space:  global
        .offset:         0
        .size:           8
        .value_kind:     global_buffer
      - .address_space:  global
        .offset:         8
        .size:           8
        .value_kind:     global_buffer
      - .offset:         16
        .size:           4
        .value_kind:     by_value
      - .offset:         20
        .size:           4
        .value_kind:     by_value
      - .offset:         24
        .size:           4
        .value_kind:     by_value
      - .offset:         28
        .size:           4
        .value_kind:     by_value
      - .offset:         32
        .size:           4
        .value_kind:     by_value
      - .offset:         36
        .size:           4
        .value_kind:     by_value
      - .offset:         40
        .size:           4
        .value_kind:     by_value
      - .offset:         44
        .size:           4
        .value_kind:     by_value
    .group_segment_fixed_size: 320
    .kernarg_segment_align: 8
    .kernarg_segment_size: 48
    .language:       OpenCL C
    .language_version:
      - 2
      - 0
    .max_flat_workgroup_size: 256
    .name:           batched_transpose_16x16_byte
    .private_segment_fixed_size: 0
    .sgpr_count:     30
    .sgpr_spill_count: 0
    .symbol:         batched_transpose_16x16_byte.kd
    .uniform_work_group_size: 1
    .uses_dynamic_stack: false
    .vgpr_count:     13
    .vgpr_spill_count: 0
    .wavefront_size: 64
  - .agpr_count:     0
    .args:
      - .address_space:  global
        .offset:         0
        .size:           8
        .value_kind:     global_buffer
      - .address_space:  global
        .offset:         8
        .size:           8
        .value_kind:     global_buffer
      - .offset:         16
        .size:           4
        .value_kind:     by_value
      - .offset:         20
        .size:           4
        .value_kind:     by_value
      - .offset:         24
        .size:           4
        .value_kind:     by_value
      - .offset:         28
        .size:           4
        .value_kind:     by_value
      - .offset:         32
        .size:           4
        .value_kind:     by_value
      - .offset:         36
        .size:           4
        .value_kind:     by_value
      - .offset:         40
        .size:           4
        .value_kind:     by_value
      - .offset:         44
        .size:           4
        .value_kind:     by_value
    .group_segment_fixed_size: 2176
    .kernarg_segment_align: 8
    .kernarg_segment_size: 48
    .language:       OpenCL C
    .language_version:
      - 2
      - 0
    .max_flat_workgroup_size: 256
    .name:           batched_transpose_32x16_dword
    .private_segment_fixed_size: 0
    .sgpr_count:     33
    .sgpr_spill_count: 0
    .symbol:         batched_transpose_32x16_dword.kd
    .uniform_work_group_size: 1
    .uses_dynamic_stack: false
    .vgpr_count:     17
    .vgpr_spill_count: 0
    .wavefront_size: 64
  - .agpr_count:     0
    .args:
      - .address_space:  global
        .offset:         0
        .size:           8
        .value_kind:     global_buffer
      - .address_space:  global
        .offset:         8
        .size:           8
        .value_kind:     global_buffer
      - .offset:         16
        .size:           4
        .value_kind:     by_value
      - .offset:         20
        .size:           4
        .value_kind:     by_value
      - .offset:         24
        .size:           4
        .value_kind:     by_value
      - .offset:         28
        .size:           4
        .value_kind:     by_value
      - .offset:         32
        .size:           4
        .value_kind:     by_value
      - .offset:         36
        .size:           4
        .value_kind:     by_value
      - .offset:         40
        .size:           4
        .value_kind:     by_value
      - .offset:         44
        .size:           4
        .value_kind:     by_value
    .group_segment_fixed_size: 1152
    .kernarg_segment_align: 8
    .kernarg_segment_size: 48
    .language:       OpenCL C
    .language_version:
      - 2
      - 0
    .max_flat_workgroup_size: 256
    .name:           batched_transpose_32x16_half
    .private_segment_fixed_size: 0
    .sgpr_count:     33
    .sgpr_spill_count: 0
    .symbol:         batched_transpose_32x16_half.kd
    .uniform_work_group_size: 1
    .uses_dynamic_stack: false
    .vgpr_count:     17
    .vgpr_spill_count: 0
    .wavefront_size: 64
  - .agpr_count:     0
    .args:
      - .address_space:  global
        .offset:         0
        .size:           8
        .value_kind:     global_buffer
      - .address_space:  global
        .offset:         8
        .size:           8
        .value_kind:     global_buffer
      - .offset:         16
        .size:           4
        .value_kind:     by_value
      - .offset:         20
        .size:           4
        .value_kind:     by_value
      - .offset:         24
        .size:           4
        .value_kind:     by_value
      - .offset:         28
        .size:           4
        .value_kind:     by_value
      - .offset:         32
        .size:           4
        .value_kind:     by_value
      - .offset:         36
        .size:           4
        .value_kind:     by_value
      - .offset:         40
        .size:           4
        .value_kind:     by_value
      - .offset:         44
        .size:           4
        .value_kind:     by_value
    .group_segment_fixed_size: 640
    .kernarg_segment_align: 8
    .kernarg_segment_size: 48
    .language:       OpenCL C
    .language_version:
      - 2
      - 0
    .max_flat_workgroup_size: 256
    .name:           batched_transpose_32x16_byte
    .private_segment_fixed_size: 0
    .sgpr_count:     33
    .sgpr_spill_count: 0
    .symbol:         batched_transpose_32x16_byte.kd
    .uniform_work_group_size: 1
    .uses_dynamic_stack: false
    .vgpr_count:     18
    .vgpr_spill_count: 0
    .wavefront_size: 64
  - .agpr_count:     0
    .args:
      - .address_space:  global
        .offset:         0
        .size:           8
        .value_kind:     global_buffer
      - .address_space:  global
        .offset:         8
        .size:           8
        .value_kind:     global_buffer
      - .offset:         16
        .size:           4
        .value_kind:     by_value
      - .offset:         20
        .size:           4
        .value_kind:     by_value
      - .offset:         24
        .size:           4
        .value_kind:     by_value
      - .offset:         28
        .size:           4
        .value_kind:     by_value
      - .offset:         32
        .size:           4
        .value_kind:     by_value
      - .offset:         36
        .size:           4
        .value_kind:     by_value
      - .offset:         40
        .size:           4
        .value_kind:     by_value
      - .offset:         44
        .size:           4
        .value_kind:     by_value
    .group_segment_fixed_size: 2176
    .kernarg_segment_align: 8
    .kernarg_segment_size: 48
    .language:       OpenCL C
    .language_version:
      - 2
      - 0
    .max_flat_workgroup_size: 256
    .name:           batched_transpose_16x32_dword
    .private_segment_fixed_size: 0
    .sgpr_count:     33
    .sgpr_spill_count: 0
    .symbol:         batched_transpose_16x32_dword.kd
    .uniform_work_group_size: 1
    .uses_dynamic_stack: false
    .vgpr_count:     17
    .vgpr_spill_count: 0
    .wavefront_size: 64
  - .agpr_count:     0
    .args:
      - .address_space:  global
        .offset:         0
        .size:           8
        .value_kind:     global_buffer
      - .address_space:  global
        .offset:         8
        .size:           8
        .value_kind:     global_buffer
      - .offset:         16
        .size:           4
        .value_kind:     by_value
      - .offset:         20
        .size:           4
        .value_kind:     by_value
      - .offset:         24
        .size:           4
        .value_kind:     by_value
      - .offset:         28
        .size:           4
        .value_kind:     by_value
      - .offset:         32
        .size:           4
        .value_kind:     by_value
      - .offset:         36
        .size:           4
        .value_kind:     by_value
      - .offset:         40
        .size:           4
        .value_kind:     by_value
      - .offset:         44
        .size:           4
        .value_kind:     by_value
    .group_segment_fixed_size: 1152
    .kernarg_segment_align: 8
    .kernarg_segment_size: 48
    .language:       OpenCL C
    .language_version:
      - 2
      - 0
    .max_flat_workgroup_size: 256
    .name:           batched_transpose_16x32_half
    .private_segment_fixed_size: 0
    .sgpr_count:     33
    .sgpr_spill_count: 0
    .symbol:         batched_transpose_16x32_half.kd
    .uniform_work_group_size: 1
    .uses_dynamic_stack: false
    .vgpr_count:     17
    .vgpr_spill_count: 0
    .wavefront_size: 64
  - .agpr_count:     0
    .args:
      - .address_space:  global
        .offset:         0
        .size:           8
        .value_kind:     global_buffer
      - .address_space:  global
        .offset:         8
        .size:           8
        .value_kind:     global_buffer
      - .offset:         16
        .size:           4
        .value_kind:     by_value
      - .offset:         20
        .size:           4
        .value_kind:     by_value
      - .offset:         24
        .size:           4
        .value_kind:     by_value
      - .offset:         28
        .size:           4
        .value_kind:     by_value
      - .offset:         32
        .size:           4
        .value_kind:     by_value
      - .offset:         36
        .size:           4
        .value_kind:     by_value
      - .offset:         40
        .size:           4
        .value_kind:     by_value
      - .offset:         44
        .size:           4
        .value_kind:     by_value
    .group_segment_fixed_size: 640
    .kernarg_segment_align: 8
    .kernarg_segment_size: 48
    .language:       OpenCL C
    .language_version:
      - 2
      - 0
    .max_flat_workgroup_size: 256
    .name:           batched_transpose_16x32_byte
    .private_segment_fixed_size: 0
    .sgpr_count:     33
    .sgpr_spill_count: 0
    .symbol:         batched_transpose_16x32_byte.kd
    .uniform_work_group_size: 1
    .uses_dynamic_stack: false
    .vgpr_count:     17
    .vgpr_spill_count: 0
    .wavefront_size: 64
  - .agpr_count:     0
    .args:
      - .address_space:  global
        .offset:         0
        .size:           8
        .value_kind:     global_buffer
      - .address_space:  global
        .offset:         8
        .size:           8
        .value_kind:     global_buffer
      - .offset:         16
        .size:           4
        .value_kind:     by_value
      - .offset:         20
        .size:           4
        .value_kind:     by_value
      - .offset:         24
        .size:           4
        .value_kind:     by_value
      - .offset:         28
        .size:           4
        .value_kind:     by_value
      - .offset:         32
        .size:           4
        .value_kind:     by_value
      - .offset:         36
        .size:           4
        .value_kind:     by_value
      - .offset:         40
        .size:           4
        .value_kind:     by_value
      - .offset:         44
        .size:           4
        .value_kind:     by_value
    .group_segment_fixed_size: 4352
    .kernarg_segment_align: 8
    .kernarg_segment_size: 48
    .language:       OpenCL C
    .language_version:
      - 2
      - 0
    .max_flat_workgroup_size: 256
    .name:           batched_transpose_32x32_dword
    .private_segment_fixed_size: 0
    .sgpr_count:     46
    .sgpr_spill_count: 0
    .symbol:         batched_transpose_32x32_dword.kd
    .uniform_work_group_size: 1
    .uses_dynamic_stack: false
    .vgpr_count:     21
    .vgpr_spill_count: 0
    .wavefront_size: 64
  - .agpr_count:     0
    .args:
      - .address_space:  global
        .offset:         0
        .size:           8
        .value_kind:     global_buffer
      - .address_space:  global
        .offset:         8
        .size:           8
        .value_kind:     global_buffer
      - .offset:         16
        .size:           4
        .value_kind:     by_value
      - .offset:         20
        .size:           4
        .value_kind:     by_value
      - .offset:         24
        .size:           4
        .value_kind:     by_value
      - .offset:         28
        .size:           4
        .value_kind:     by_value
      - .offset:         32
        .size:           4
        .value_kind:     by_value
      - .offset:         36
        .size:           4
        .value_kind:     by_value
      - .offset:         40
        .size:           4
        .value_kind:     by_value
      - .offset:         44
        .size:           4
        .value_kind:     by_value
    .group_segment_fixed_size: 2176
    .kernarg_segment_align: 8
    .kernarg_segment_size: 48
    .language:       OpenCL C
    .language_version:
      - 2
      - 0
    .max_flat_workgroup_size: 256
    .name:           batched_transpose_32x32_half
    .private_segment_fixed_size: 0
    .sgpr_count:     48
    .sgpr_spill_count: 0
    .symbol:         batched_transpose_32x32_half.kd
    .uniform_work_group_size: 1
    .uses_dynamic_stack: false
    .vgpr_count:     21
    .vgpr_spill_count: 0
    .wavefront_size: 64
  - .agpr_count:     0
    .args:
      - .address_space:  global
        .offset:         0
        .size:           8
        .value_kind:     global_buffer
      - .address_space:  global
        .offset:         8
        .size:           8
        .value_kind:     global_buffer
      - .offset:         16
        .size:           4
        .value_kind:     by_value
      - .offset:         20
        .size:           4
        .value_kind:     by_value
      - .offset:         24
        .size:           4
        .value_kind:     by_value
      - .offset:         28
        .size:           4
        .value_kind:     by_value
      - .offset:         32
        .size:           4
        .value_kind:     by_value
      - .offset:         36
        .size:           4
        .value_kind:     by_value
      - .offset:         40
        .size:           4
        .value_kind:     by_value
      - .offset:         44
        .size:           4
        .value_kind:     by_value
    .group_segment_fixed_size: 1088
    .kernarg_segment_align: 8
    .kernarg_segment_size: 48
    .language:       OpenCL C
    .language_version:
      - 2
      - 0
    .max_flat_workgroup_size: 256
    .name:           batched_transpose_32x32_byte
    .private_segment_fixed_size: 0
    .sgpr_count:     46
    .sgpr_spill_count: 0
    .symbol:         batched_transpose_32x32_byte.kd
    .uniform_work_group_size: 1
    .uses_dynamic_stack: false
    .vgpr_count:     21
    .vgpr_spill_count: 0
    .wavefront_size: 64
  - .agpr_count:     0
    .args:
      - .address_space:  global
        .offset:         0
        .size:           8
        .value_kind:     global_buffer
      - .address_space:  global
        .offset:         8
        .size:           8
        .value_kind:     global_buffer
      - .offset:         16
        .size:           4
        .value_kind:     by_value
      - .offset:         20
        .size:           4
        .value_kind:     by_value
      - .offset:         24
        .size:           4
        .value_kind:     by_value
      - .offset:         28
        .size:           4
        .value_kind:     by_value
      - .offset:         32
        .size:           4
        .value_kind:     by_value
      - .offset:         36
        .size:           4
        .value_kind:     by_value
      - .offset:         40
        .size:           4
        .value_kind:     by_value
      - .offset:         44
        .size:           4
        .value_kind:     by_value
    .group_segment_fixed_size: 0
    .kernarg_segment_align: 8
    .kernarg_segment_size: 48
    .language:       OpenCL C
    .language_version:
      - 2
      - 0
    .max_flat_workgroup_size: 256
    .name:           batched_transpose_4x256_dword
    .private_segment_fixed_size: 0
    .sgpr_count:     49
    .sgpr_spill_count: 0
    .symbol:         batched_transpose_4x256_dword.kd
    .uniform_work_group_size: 1
    .uses_dynamic_stack: false
    .vgpr_count:     12
    .vgpr_spill_count: 0
    .wavefront_size: 64
  - .agpr_count:     0
    .args:
      - .address_space:  global
        .offset:         0
        .size:           8
        .value_kind:     global_buffer
      - .address_space:  global
        .offset:         8
        .size:           8
        .value_kind:     global_buffer
      - .offset:         16
        .size:           4
        .value_kind:     by_value
      - .offset:         20
        .size:           4
        .value_kind:     by_value
      - .offset:         24
        .size:           4
        .value_kind:     by_value
      - .offset:         28
        .size:           4
        .value_kind:     by_value
      - .offset:         32
        .size:           4
        .value_kind:     by_value
      - .offset:         36
        .size:           4
        .value_kind:     by_value
      - .offset:         40
        .size:           4
        .value_kind:     by_value
      - .offset:         44
        .size:           4
        .value_kind:     by_value
    .group_segment_fixed_size: 0
    .kernarg_segment_align: 8
    .kernarg_segment_size: 48
    .language:       OpenCL C
    .language_version:
      - 2
      - 0
    .max_flat_workgroup_size: 256
    .name:           batched_transpose_4x256_half
    .private_segment_fixed_size: 0
    .sgpr_count:     49
    .sgpr_spill_count: 0
    .symbol:         batched_transpose_4x256_half.kd
    .uniform_work_group_size: 1
    .uses_dynamic_stack: false
    .vgpr_count:     12
    .vgpr_spill_count: 0
    .wavefront_size: 64
  - .agpr_count:     0
    .args:
      - .address_space:  global
        .offset:         0
        .size:           8
        .value_kind:     global_buffer
      - .address_space:  global
        .offset:         8
        .size:           8
        .value_kind:     global_buffer
      - .offset:         16
        .size:           4
        .value_kind:     by_value
      - .offset:         20
        .size:           4
        .value_kind:     by_value
      - .offset:         24
        .size:           4
        .value_kind:     by_value
      - .offset:         28
        .size:           4
        .value_kind:     by_value
      - .offset:         32
        .size:           4
        .value_kind:     by_value
      - .offset:         36
        .size:           4
        .value_kind:     by_value
      - .offset:         40
        .size:           4
        .value_kind:     by_value
      - .offset:         44
        .size:           4
        .value_kind:     by_value
    .group_segment_fixed_size: 0
    .kernarg_segment_align: 8
    .kernarg_segment_size: 48
    .language:       OpenCL C
    .language_version:
      - 2
      - 0
    .max_flat_workgroup_size: 256
    .name:           batched_transpose_4x256_byte
    .private_segment_fixed_size: 0
    .sgpr_count:     48
    .sgpr_spill_count: 0
    .symbol:         batched_transpose_4x256_byte.kd
    .uniform_work_group_size: 1
    .uses_dynamic_stack: false
    .vgpr_count:     14
    .vgpr_spill_count: 0
    .wavefront_size: 64
  - .agpr_count:     0
    .args:
      - .address_space:  global
        .offset:         0
        .size:           8
        .value_kind:     global_buffer
      - .address_space:  global
        .offset:         8
        .size:           8
        .value_kind:     global_buffer
      - .offset:         16
        .size:           4
        .value_kind:     by_value
      - .offset:         20
        .size:           4
        .value_kind:     by_value
      - .offset:         24
        .size:           4
        .value_kind:     by_value
      - .offset:         28
        .size:           4
        .value_kind:     by_value
      - .offset:         32
        .size:           4
        .value_kind:     by_value
      - .offset:         36
        .size:           4
        .value_kind:     by_value
      - .offset:         40
        .size:           4
        .value_kind:     by_value
      - .offset:         44
        .size:           4
        .value_kind:     by_value
    .group_segment_fixed_size: 0
    .kernarg_segment_align: 8
    .kernarg_segment_size: 48
    .language:       OpenCL C
    .language_version:
      - 2
      - 0
    .max_flat_workgroup_size: 256
    .name:           batched_transpose_256x4_dword
    .private_segment_fixed_size: 0
    .sgpr_count:     47
    .sgpr_spill_count: 0
    .symbol:         batched_transpose_256x4_dword.kd
    .uniform_work_group_size: 1
    .uses_dynamic_stack: false
    .vgpr_count:     12
    .vgpr_spill_count: 0
    .wavefront_size: 64
  - .agpr_count:     0
    .args:
      - .address_space:  global
        .offset:         0
        .size:           8
        .value_kind:     global_buffer
      - .address_space:  global
        .offset:         8
        .size:           8
        .value_kind:     global_buffer
      - .offset:         16
        .size:           4
        .value_kind:     by_value
      - .offset:         20
        .size:           4
        .value_kind:     by_value
      - .offset:         24
        .size:           4
        .value_kind:     by_value
      - .offset:         28
        .size:           4
        .value_kind:     by_value
      - .offset:         32
        .size:           4
        .value_kind:     by_value
      - .offset:         36
        .size:           4
        .value_kind:     by_value
      - .offset:         40
        .size:           4
        .value_kind:     by_value
      - .offset:         44
        .size:           4
        .value_kind:     by_value
    .group_segment_fixed_size: 0
    .kernarg_segment_align: 8
    .kernarg_segment_size: 48
    .language:       OpenCL C
    .language_version:
      - 2
      - 0
    .max_flat_workgroup_size: 256
    .name:           batched_transpose_256x4_half
    .private_segment_fixed_size: 0
    .sgpr_count:     47
    .sgpr_spill_count: 0
    .symbol:         batched_transpose_256x4_half.kd
    .uniform_work_group_size: 1
    .uses_dynamic_stack: false
    .vgpr_count:     12
    .vgpr_spill_count: 0
    .wavefront_size: 64
  - .agpr_count:     0
    .args:
      - .address_space:  global
        .offset:         0
        .size:           8
        .value_kind:     global_buffer
      - .address_space:  global
        .offset:         8
        .size:           8
        .value_kind:     global_buffer
      - .offset:         16
        .size:           4
        .value_kind:     by_value
      - .offset:         20
        .size:           4
        .value_kind:     by_value
      - .offset:         24
        .size:           4
        .value_kind:     by_value
      - .offset:         28
        .size:           4
        .value_kind:     by_value
      - .offset:         32
        .size:           4
        .value_kind:     by_value
      - .offset:         36
        .size:           4
        .value_kind:     by_value
      - .offset:         40
        .size:           4
        .value_kind:     by_value
      - .offset:         44
        .size:           4
        .value_kind:     by_value
    .group_segment_fixed_size: 0
    .kernarg_segment_align: 8
    .kernarg_segment_size: 48
    .language:       OpenCL C
    .language_version:
      - 2
      - 0
    .max_flat_workgroup_size: 256
    .name:           batched_transpose_256x4_byte
    .private_segment_fixed_size: 0
    .sgpr_count:     47
    .sgpr_spill_count: 0
    .symbol:         batched_transpose_256x4_byte.kd
    .uniform_work_group_size: 1
    .uses_dynamic_stack: false
    .vgpr_count:     12
    .vgpr_spill_count: 0
    .wavefront_size: 64
  - .agpr_count:     0
    .args:
      - .address_space:  global
        .offset:         0
        .size:           8
        .value_kind:     global_buffer
      - .address_space:  global
        .offset:         8
        .size:           8
        .value_kind:     global_buffer
      - .offset:         16
        .size:           4
        .value_kind:     by_value
      - .offset:         20
        .size:           4
        .value_kind:     by_value
      - .offset:         24
        .size:           4
        .value_kind:     by_value
      - .offset:         28
        .size:           4
        .value_kind:     by_value
      - .offset:         32
        .size:           4
        .value_kind:     by_value
      - .offset:         36
        .size:           4
        .value_kind:     by_value
      - .offset:         40
        .size:           4
        .value_kind:     by_value
      - .offset:         44
        .size:           4
        .value_kind:     by_value
    .group_segment_fixed_size: 0
    .kernarg_segment_align: 8
    .kernarg_segment_size: 48
    .language:       OpenCL C
    .language_version:
      - 2
      - 0
    .max_flat_workgroup_size: 256
    .name:           batched_transpose_4x128_dword
    .private_segment_fixed_size: 0
    .sgpr_count:     32
    .sgpr_spill_count: 0
    .symbol:         batched_transpose_4x128_dword.kd
    .uniform_work_group_size: 1
    .uses_dynamic_stack: false
    .vgpr_count:     14
    .vgpr_spill_count: 0
    .wavefront_size: 64
  - .agpr_count:     0
    .args:
      - .address_space:  global
        .offset:         0
        .size:           8
        .value_kind:     global_buffer
      - .address_space:  global
        .offset:         8
        .size:           8
        .value_kind:     global_buffer
      - .offset:         16
        .size:           4
        .value_kind:     by_value
      - .offset:         20
        .size:           4
        .value_kind:     by_value
      - .offset:         24
        .size:           4
        .value_kind:     by_value
      - .offset:         28
        .size:           4
        .value_kind:     by_value
      - .offset:         32
        .size:           4
        .value_kind:     by_value
      - .offset:         36
        .size:           4
        .value_kind:     by_value
      - .offset:         40
        .size:           4
        .value_kind:     by_value
      - .offset:         44
        .size:           4
        .value_kind:     by_value
    .group_segment_fixed_size: 0
    .kernarg_segment_align: 8
    .kernarg_segment_size: 48
    .language:       OpenCL C
    .language_version:
      - 2
      - 0
    .max_flat_workgroup_size: 256
    .name:           batched_transpose_4x128_half
    .private_segment_fixed_size: 0
    .sgpr_count:     32
    .sgpr_spill_count: 0
    .symbol:         batched_transpose_4x128_half.kd
    .uniform_work_group_size: 1
    .uses_dynamic_stack: false
    .vgpr_count:     14
    .vgpr_spill_count: 0
    .wavefront_size: 64
  - .agpr_count:     0
    .args:
      - .address_space:  global
        .offset:         0
        .size:           8
        .value_kind:     global_buffer
      - .address_space:  global
        .offset:         8
        .size:           8
        .value_kind:     global_buffer
      - .offset:         16
        .size:           4
        .value_kind:     by_value
      - .offset:         20
        .size:           4
        .value_kind:     by_value
      - .offset:         24
        .size:           4
        .value_kind:     by_value
      - .offset:         28
        .size:           4
        .value_kind:     by_value
      - .offset:         32
        .size:           4
        .value_kind:     by_value
      - .offset:         36
        .size:           4
        .value_kind:     by_value
      - .offset:         40
        .size:           4
        .value_kind:     by_value
      - .offset:         44
        .size:           4
        .value_kind:     by_value
    .group_segment_fixed_size: 0
    .kernarg_segment_align: 8
    .kernarg_segment_size: 48
    .language:       OpenCL C
    .language_version:
      - 2
      - 0
    .max_flat_workgroup_size: 256
    .name:           batched_transpose_4x128_byte
    .private_segment_fixed_size: 0
    .sgpr_count:     32
    .sgpr_spill_count: 0
    .symbol:         batched_transpose_4x128_byte.kd
    .uniform_work_group_size: 1
    .uses_dynamic_stack: false
    .vgpr_count:     14
    .vgpr_spill_count: 0
    .wavefront_size: 64
  - .agpr_count:     0
    .args:
      - .address_space:  global
        .offset:         0
        .size:           8
        .value_kind:     global_buffer
      - .address_space:  global
        .offset:         8
        .size:           8
        .value_kind:     global_buffer
      - .offset:         16
        .size:           4
        .value_kind:     by_value
      - .offset:         20
        .size:           4
        .value_kind:     by_value
      - .offset:         24
        .size:           4
        .value_kind:     by_value
      - .offset:         28
        .size:           4
        .value_kind:     by_value
      - .offset:         32
        .size:           4
        .value_kind:     by_value
      - .offset:         36
        .size:           4
        .value_kind:     by_value
      - .offset:         40
        .size:           4
        .value_kind:     by_value
      - .offset:         44
        .size:           4
        .value_kind:     by_value
    .group_segment_fixed_size: 0
    .kernarg_segment_align: 8
    .kernarg_segment_size: 48
    .language:       OpenCL C
    .language_version:
      - 2
      - 0
    .max_flat_workgroup_size: 256
    .name:           batched_transpose_128x4_dword
    .private_segment_fixed_size: 0
    .sgpr_count:     32
    .sgpr_spill_count: 0
    .symbol:         batched_transpose_128x4_dword.kd
    .uniform_work_group_size: 1
    .uses_dynamic_stack: false
    .vgpr_count:     14
    .vgpr_spill_count: 0
    .wavefront_size: 64
  - .agpr_count:     0
    .args:
      - .address_space:  global
        .offset:         0
        .size:           8
        .value_kind:     global_buffer
      - .address_space:  global
        .offset:         8
        .size:           8
        .value_kind:     global_buffer
      - .offset:         16
        .size:           4
        .value_kind:     by_value
      - .offset:         20
        .size:           4
        .value_kind:     by_value
      - .offset:         24
        .size:           4
        .value_kind:     by_value
      - .offset:         28
        .size:           4
        .value_kind:     by_value
      - .offset:         32
        .size:           4
        .value_kind:     by_value
      - .offset:         36
        .size:           4
        .value_kind:     by_value
      - .offset:         40
        .size:           4
        .value_kind:     by_value
      - .offset:         44
        .size:           4
        .value_kind:     by_value
    .group_segment_fixed_size: 0
    .kernarg_segment_align: 8
    .kernarg_segment_size: 48
    .language:       OpenCL C
    .language_version:
      - 2
      - 0
    .max_flat_workgroup_size: 256
    .name:           batched_transpose_128x4_half
    .private_segment_fixed_size: 0
    .sgpr_count:     32
    .sgpr_spill_count: 0
    .symbol:         batched_transpose_128x4_half.kd
    .uniform_work_group_size: 1
    .uses_dynamic_stack: false
    .vgpr_count:     14
    .vgpr_spill_count: 0
    .wavefront_size: 64
  - .agpr_count:     0
    .args:
      - .address_space:  global
        .offset:         0
        .size:           8
        .value_kind:     global_buffer
      - .address_space:  global
        .offset:         8
        .size:           8
        .value_kind:     global_buffer
      - .offset:         16
        .size:           4
        .value_kind:     by_value
      - .offset:         20
        .size:           4
        .value_kind:     by_value
      - .offset:         24
        .size:           4
        .value_kind:     by_value
      - .offset:         28
        .size:           4
        .value_kind:     by_value
      - .offset:         32
        .size:           4
        .value_kind:     by_value
      - .offset:         36
        .size:           4
        .value_kind:     by_value
      - .offset:         40
        .size:           4
        .value_kind:     by_value
      - .offset:         44
        .size:           4
        .value_kind:     by_value
    .group_segment_fixed_size: 0
    .kernarg_segment_align: 8
    .kernarg_segment_size: 48
    .language:       OpenCL C
    .language_version:
      - 2
      - 0
    .max_flat_workgroup_size: 256
    .name:           batched_transpose_128x4_byte
    .private_segment_fixed_size: 0
    .sgpr_count:     32
    .sgpr_spill_count: 0
    .symbol:         batched_transpose_128x4_byte.kd
    .uniform_work_group_size: 1
    .uses_dynamic_stack: false
    .vgpr_count:     14
    .vgpr_spill_count: 0
    .wavefront_size: 64
  - .agpr_count:     0
    .args:
      - .address_space:  global
        .offset:         0
        .size:           8
        .value_kind:     global_buffer
      - .address_space:  global
        .offset:         8
        .size:           8
        .value_kind:     global_buffer
      - .offset:         16
        .size:           4
        .value_kind:     by_value
      - .offset:         20
        .size:           4
        .value_kind:     by_value
      - .offset:         24
        .size:           4
        .value_kind:     by_value
      - .offset:         28
        .size:           4
        .value_kind:     by_value
      - .offset:         32
        .size:           4
        .value_kind:     by_value
      - .offset:         36
        .size:           4
        .value_kind:     by_value
      - .offset:         40
        .size:           4
        .value_kind:     by_value
      - .offset:         44
        .size:           4
        .value_kind:     by_value
    .group_segment_fixed_size: 0
    .kernarg_segment_align: 8
    .kernarg_segment_size: 48
    .language:       OpenCL C
    .language_version:
      - 2
      - 0
    .max_flat_workgroup_size: 256
    .name:           batched_transpose_4x64_dword
    .private_segment_fixed_size: 0
    .sgpr_count:     28
    .sgpr_spill_count: 0
    .symbol:         batched_transpose_4x64_dword.kd
    .uniform_work_group_size: 1
    .uses_dynamic_stack: false
    .vgpr_count:     10
    .vgpr_spill_count: 0
    .wavefront_size: 64
  - .agpr_count:     0
    .args:
      - .address_space:  global
        .offset:         0
        .size:           8
        .value_kind:     global_buffer
      - .address_space:  global
        .offset:         8
        .size:           8
        .value_kind:     global_buffer
      - .offset:         16
        .size:           4
        .value_kind:     by_value
      - .offset:         20
        .size:           4
        .value_kind:     by_value
      - .offset:         24
        .size:           4
        .value_kind:     by_value
      - .offset:         28
        .size:           4
        .value_kind:     by_value
      - .offset:         32
        .size:           4
        .value_kind:     by_value
      - .offset:         36
        .size:           4
        .value_kind:     by_value
      - .offset:         40
        .size:           4
        .value_kind:     by_value
      - .offset:         44
        .size:           4
        .value_kind:     by_value
    .group_segment_fixed_size: 0
    .kernarg_segment_align: 8
    .kernarg_segment_size: 48
    .language:       OpenCL C
    .language_version:
      - 2
      - 0
    .max_flat_workgroup_size: 256
    .name:           batched_transpose_4x64_half
    .private_segment_fixed_size: 0
    .sgpr_count:     28
    .sgpr_spill_count: 0
    .symbol:         batched_transpose_4x64_half.kd
    .uniform_work_group_size: 1
    .uses_dynamic_stack: false
    .vgpr_count:     10
    .vgpr_spill_count: 0
    .wavefront_size: 64
  - .agpr_count:     0
    .args:
      - .address_space:  global
        .offset:         0
        .size:           8
        .value_kind:     global_buffer
      - .address_space:  global
        .offset:         8
        .size:           8
        .value_kind:     global_buffer
      - .offset:         16
        .size:           4
        .value_kind:     by_value
      - .offset:         20
        .size:           4
        .value_kind:     by_value
      - .offset:         24
        .size:           4
        .value_kind:     by_value
      - .offset:         28
        .size:           4
        .value_kind:     by_value
      - .offset:         32
        .size:           4
        .value_kind:     by_value
      - .offset:         36
        .size:           4
        .value_kind:     by_value
      - .offset:         40
        .size:           4
        .value_kind:     by_value
      - .offset:         44
        .size:           4
        .value_kind:     by_value
    .group_segment_fixed_size: 0
    .kernarg_segment_align: 8
    .kernarg_segment_size: 48
    .language:       OpenCL C
    .language_version:
      - 2
      - 0
    .max_flat_workgroup_size: 256
    .name:           batched_transpose_4x64_byte
    .private_segment_fixed_size: 0
    .sgpr_count:     28
    .sgpr_spill_count: 0
    .symbol:         batched_transpose_4x64_byte.kd
    .uniform_work_group_size: 1
    .uses_dynamic_stack: false
    .vgpr_count:     10
    .vgpr_spill_count: 0
    .wavefront_size: 64
  - .agpr_count:     0
    .args:
      - .address_space:  global
        .offset:         0
        .size:           8
        .value_kind:     global_buffer
      - .address_space:  global
        .offset:         8
        .size:           8
        .value_kind:     global_buffer
      - .offset:         16
        .size:           4
        .value_kind:     by_value
      - .offset:         20
        .size:           4
        .value_kind:     by_value
      - .offset:         24
        .size:           4
        .value_kind:     by_value
      - .offset:         28
        .size:           4
        .value_kind:     by_value
      - .offset:         32
        .size:           4
        .value_kind:     by_value
      - .offset:         36
        .size:           4
        .value_kind:     by_value
      - .offset:         40
        .size:           4
        .value_kind:     by_value
      - .offset:         44
        .size:           4
        .value_kind:     by_value
    .group_segment_fixed_size: 0
    .kernarg_segment_align: 8
    .kernarg_segment_size: 48
    .language:       OpenCL C
    .language_version:
      - 2
      - 0
    .max_flat_workgroup_size: 256
    .name:           batched_transpose_64x4_dword
    .private_segment_fixed_size: 0
    .sgpr_count:     28
    .sgpr_spill_count: 0
    .symbol:         batched_transpose_64x4_dword.kd
    .uniform_work_group_size: 1
    .uses_dynamic_stack: false
    .vgpr_count:     10
    .vgpr_spill_count: 0
    .wavefront_size: 64
  - .agpr_count:     0
    .args:
      - .address_space:  global
        .offset:         0
        .size:           8
        .value_kind:     global_buffer
      - .address_space:  global
        .offset:         8
        .size:           8
        .value_kind:     global_buffer
      - .offset:         16
        .size:           4
        .value_kind:     by_value
      - .offset:         20
        .size:           4
        .value_kind:     by_value
      - .offset:         24
        .size:           4
        .value_kind:     by_value
      - .offset:         28
        .size:           4
        .value_kind:     by_value
      - .offset:         32
        .size:           4
        .value_kind:     by_value
      - .offset:         36
        .size:           4
        .value_kind:     by_value
      - .offset:         40
        .size:           4
        .value_kind:     by_value
      - .offset:         44
        .size:           4
        .value_kind:     by_value
    .group_segment_fixed_size: 0
    .kernarg_segment_align: 8
    .kernarg_segment_size: 48
    .language:       OpenCL C
    .language_version:
      - 2
      - 0
    .max_flat_workgroup_size: 256
    .name:           batched_transpose_64x4_half
    .private_segment_fixed_size: 0
    .sgpr_count:     28
    .sgpr_spill_count: 0
    .symbol:         batched_transpose_64x4_half.kd
    .uniform_work_group_size: 1
    .uses_dynamic_stack: false
    .vgpr_count:     10
    .vgpr_spill_count: 0
    .wavefront_size: 64
  - .agpr_count:     0
    .args:
      - .address_space:  global
        .offset:         0
        .size:           8
        .value_kind:     global_buffer
      - .address_space:  global
        .offset:         8
        .size:           8
        .value_kind:     global_buffer
      - .offset:         16
        .size:           4
        .value_kind:     by_value
      - .offset:         20
        .size:           4
        .value_kind:     by_value
      - .offset:         24
        .size:           4
        .value_kind:     by_value
      - .offset:         28
        .size:           4
        .value_kind:     by_value
      - .offset:         32
        .size:           4
        .value_kind:     by_value
      - .offset:         36
        .size:           4
        .value_kind:     by_value
      - .offset:         40
        .size:           4
        .value_kind:     by_value
      - .offset:         44
        .size:           4
        .value_kind:     by_value
    .group_segment_fixed_size: 0
    .kernarg_segment_align: 8
    .kernarg_segment_size: 48
    .language:       OpenCL C
    .language_version:
      - 2
      - 0
    .max_flat_workgroup_size: 256
    .name:           batched_transpose_64x4_byte
    .private_segment_fixed_size: 0
    .sgpr_count:     28
    .sgpr_spill_count: 0
    .symbol:         batched_transpose_64x4_byte.kd
    .uniform_work_group_size: 1
    .uses_dynamic_stack: false
    .vgpr_count:     10
    .vgpr_spill_count: 0
    .wavefront_size: 64
  - .agpr_count:     0
    .args:
      - .address_space:  global
        .offset:         0
        .size:           8
        .value_kind:     global_buffer
      - .address_space:  global
        .offset:         8
        .size:           8
        .value_kind:     global_buffer
      - .offset:         16
        .size:           4
        .value_kind:     by_value
      - .offset:         20
        .size:           4
        .value_kind:     by_value
      - .offset:         24
        .size:           4
        .value_kind:     by_value
      - .offset:         28
        .size:           4
        .value_kind:     by_value
      - .offset:         32
        .size:           4
        .value_kind:     by_value
      - .offset:         36
        .size:           4
        .value_kind:     by_value
      - .offset:         40
        .size:           4
        .value_kind:     by_value
      - .offset:         44
        .size:           4
        .value_kind:     by_value
    .group_segment_fixed_size: 2176
    .kernarg_segment_align: 8
    .kernarg_segment_size: 48
    .language:       OpenCL C
    .language_version:
      - 2
      - 0
    .max_flat_workgroup_size: 256
    .name:           batched_transpose_32x32_pack_2x2_ediv_2x2_half
    .private_segment_fixed_size: 0
    .sgpr_count:     40
    .sgpr_spill_count: 0
    .symbol:         batched_transpose_32x32_pack_2x2_ediv_2x2_half.kd
    .uniform_work_group_size: 1
    .uses_dynamic_stack: false
    .vgpr_count:     16
    .vgpr_spill_count: 0
    .wavefront_size: 64
  - .agpr_count:     0
    .args:
      - .address_space:  global
        .offset:         0
        .size:           8
        .value_kind:     global_buffer
      - .address_space:  global
        .offset:         8
        .size:           8
        .value_kind:     global_buffer
      - .offset:         16
        .size:           4
        .value_kind:     by_value
      - .offset:         20
        .size:           4
        .value_kind:     by_value
      - .offset:         24
        .size:           4
        .value_kind:     by_value
      - .offset:         28
        .size:           4
        .value_kind:     by_value
      - .offset:         32
        .size:           4
        .value_kind:     by_value
      - .offset:         36
        .size:           4
        .value_kind:     by_value
      - .offset:         40
        .size:           4
        .value_kind:     by_value
      - .offset:         44
        .size:           4
        .value_kind:     by_value
    .group_segment_fixed_size: 2176
    .kernarg_segment_align: 8
    .kernarg_segment_size: 48
    .language:       OpenCL C
    .language_version:
      - 2
      - 0
    .max_flat_workgroup_size: 256
    .name:           batched_transpose_32x32_pack_2x2_ediv_1x2_half
    .private_segment_fixed_size: 0
    .sgpr_count:     39
    .sgpr_spill_count: 0
    .symbol:         batched_transpose_32x32_pack_2x2_ediv_1x2_half.kd
    .uniform_work_group_size: 1
    .uses_dynamic_stack: false
    .vgpr_count:     20
    .vgpr_spill_count: 0
    .wavefront_size: 64
  - .agpr_count:     0
    .args:
      - .address_space:  global
        .offset:         0
        .size:           8
        .value_kind:     global_buffer
      - .address_space:  global
        .offset:         8
        .size:           8
        .value_kind:     global_buffer
      - .offset:         16
        .size:           4
        .value_kind:     by_value
      - .offset:         20
        .size:           4
        .value_kind:     by_value
      - .offset:         24
        .size:           4
        .value_kind:     by_value
      - .offset:         28
        .size:           4
        .value_kind:     by_value
      - .offset:         32
        .size:           4
        .value_kind:     by_value
      - .offset:         36
        .size:           4
        .value_kind:     by_value
      - .offset:         40
        .size:           4
        .value_kind:     by_value
      - .offset:         44
        .size:           4
        .value_kind:     by_value
    .group_segment_fixed_size: 2176
    .kernarg_segment_align: 8
    .kernarg_segment_size: 48
    .language:       OpenCL C
    .language_version:
      - 2
      - 0
    .max_flat_workgroup_size: 256
    .name:           batched_transpose_32x32_pack_2x2_ediv_2x1_half
    .private_segment_fixed_size: 0
    .sgpr_count:     36
    .sgpr_spill_count: 0
    .symbol:         batched_transpose_32x32_pack_2x2_ediv_2x1_half.kd
    .uniform_work_group_size: 1
    .uses_dynamic_stack: false
    .vgpr_count:     22
    .vgpr_spill_count: 0
    .wavefront_size: 64
  - .agpr_count:     0
    .args:
      - .address_space:  global
        .offset:         0
        .size:           8
        .value_kind:     global_buffer
      - .address_space:  global
        .offset:         8
        .size:           8
        .value_kind:     global_buffer
      - .offset:         16
        .size:           4
        .value_kind:     by_value
      - .offset:         20
        .size:           4
        .value_kind:     by_value
      - .offset:         24
        .size:           4
        .value_kind:     by_value
      - .offset:         28
        .size:           4
        .value_kind:     by_value
      - .offset:         32
        .size:           4
        .value_kind:     by_value
      - .offset:         36
        .size:           4
        .value_kind:     by_value
      - .offset:         40
        .size:           4
        .value_kind:     by_value
      - .offset:         44
        .size:           4
        .value_kind:     by_value
    .group_segment_fixed_size: 2176
    .kernarg_segment_align: 8
    .kernarg_segment_size: 48
    .language:       OpenCL C
    .language_version:
      - 2
      - 0
    .max_flat_workgroup_size: 256
    .name:           batched_transpose_32x32_pack_2x2_ediv_1x1_half
    .private_segment_fixed_size: 0
    .sgpr_count:     50
    .sgpr_spill_count: 0
    .symbol:         batched_transpose_32x32_pack_2x2_ediv_1x1_half.kd
    .uniform_work_group_size: 1
    .uses_dynamic_stack: false
    .vgpr_count:     18
    .vgpr_spill_count: 0
    .wavefront_size: 64
  - .agpr_count:     0
    .args:
      - .address_space:  global
        .offset:         0
        .size:           8
        .value_kind:     global_buffer
      - .address_space:  global
        .offset:         8
        .size:           8
        .value_kind:     global_buffer
      - .offset:         16
        .size:           4
        .value_kind:     by_value
      - .offset:         20
        .size:           4
        .value_kind:     by_value
      - .offset:         24
        .size:           4
        .value_kind:     by_value
      - .offset:         28
        .size:           4
        .value_kind:     by_value
      - .offset:         32
        .size:           4
        .value_kind:     by_value
      - .offset:         36
        .size:           4
        .value_kind:     by_value
      - .offset:         40
        .size:           4
        .value_kind:     by_value
      - .offset:         44
        .size:           4
        .value_kind:     by_value
    .group_segment_fixed_size: 4352
    .kernarg_segment_align: 8
    .kernarg_segment_size: 48
    .language:       OpenCL C
    .language_version:
      - 2
      - 0
    .max_flat_workgroup_size: 256
    .name:           batched_transpose_64x32_pack_4x2_ediv_4x2_half
    .private_segment_fixed_size: 0
    .sgpr_count:     44
    .sgpr_spill_count: 0
    .symbol:         batched_transpose_64x32_pack_4x2_ediv_4x2_half.kd
    .uniform_work_group_size: 1
    .uses_dynamic_stack: false
    .vgpr_count:     18
    .vgpr_spill_count: 0
    .wavefront_size: 64
  - .agpr_count:     0
    .args:
      - .address_space:  global
        .offset:         0
        .size:           8
        .value_kind:     global_buffer
      - .address_space:  global
        .offset:         8
        .size:           8
        .value_kind:     global_buffer
      - .offset:         16
        .size:           4
        .value_kind:     by_value
      - .offset:         20
        .size:           4
        .value_kind:     by_value
      - .offset:         24
        .size:           4
        .value_kind:     by_value
      - .offset:         28
        .size:           4
        .value_kind:     by_value
      - .offset:         32
        .size:           4
        .value_kind:     by_value
      - .offset:         36
        .size:           4
        .value_kind:     by_value
      - .offset:         40
        .size:           4
        .value_kind:     by_value
      - .offset:         44
        .size:           4
        .value_kind:     by_value
    .group_segment_fixed_size: 4352
    .kernarg_segment_align: 8
    .kernarg_segment_size: 48
    .language:       OpenCL C
    .language_version:
      - 2
      - 0
    .max_flat_workgroup_size: 256
    .name:           batched_transpose_64x32_pack_4x2_ediv_2x2_half
    .private_segment_fixed_size: 0
    .sgpr_count:     42
    .sgpr_spill_count: 0
    .symbol:         batched_transpose_64x32_pack_4x2_ediv_2x2_half.kd
    .uniform_work_group_size: 1
    .uses_dynamic_stack: false
    .vgpr_count:     24
    .vgpr_spill_count: 0
    .wavefront_size: 64
  - .agpr_count:     0
    .args:
      - .address_space:  global
        .offset:         0
        .size:           8
        .value_kind:     global_buffer
      - .address_space:  global
        .offset:         8
        .size:           8
        .value_kind:     global_buffer
      - .offset:         16
        .size:           4
        .value_kind:     by_value
      - .offset:         20
        .size:           4
        .value_kind:     by_value
      - .offset:         24
        .size:           4
        .value_kind:     by_value
      - .offset:         28
        .size:           4
        .value_kind:     by_value
      - .offset:         32
        .size:           4
        .value_kind:     by_value
      - .offset:         36
        .size:           4
        .value_kind:     by_value
      - .offset:         40
        .size:           4
        .value_kind:     by_value
      - .offset:         44
        .size:           4
        .value_kind:     by_value
    .group_segment_fixed_size: 4352
    .kernarg_segment_align: 8
    .kernarg_segment_size: 48
    .language:       OpenCL C
    .language_version:
      - 2
      - 0
    .max_flat_workgroup_size: 256
    .name:           batched_transpose_64x32_pack_4x2_ediv_2x1_half
    .private_segment_fixed_size: 0
    .sgpr_count:     50
    .sgpr_spill_count: 0
    .symbol:         batched_transpose_64x32_pack_4x2_ediv_2x1_half.kd
    .uniform_work_group_size: 1
    .uses_dynamic_stack: false
    .vgpr_count:     28
    .vgpr_spill_count: 0
    .wavefront_size: 64
  - .agpr_count:     0
    .args:
      - .address_space:  global
        .offset:         0
        .size:           8
        .value_kind:     global_buffer
      - .address_space:  global
        .offset:         8
        .size:           8
        .value_kind:     global_buffer
      - .offset:         16
        .size:           4
        .value_kind:     by_value
      - .offset:         20
        .size:           4
        .value_kind:     by_value
      - .offset:         24
        .size:           4
        .value_kind:     by_value
      - .offset:         28
        .size:           4
        .value_kind:     by_value
      - .offset:         32
        .size:           4
        .value_kind:     by_value
      - .offset:         36
        .size:           4
        .value_kind:     by_value
      - .offset:         40
        .size:           4
        .value_kind:     by_value
      - .offset:         44
        .size:           4
        .value_kind:     by_value
    .group_segment_fixed_size: 4352
    .kernarg_segment_align: 8
    .kernarg_segment_size: 48
    .language:       OpenCL C
    .language_version:
      - 2
      - 0
    .max_flat_workgroup_size: 256
    .name:           batched_transpose_32x64_pack_2x4_ediv_2x4_half
    .private_segment_fixed_size: 0
    .sgpr_count:     42
    .sgpr_spill_count: 0
    .symbol:         batched_transpose_32x64_pack_2x4_ediv_2x4_half.kd
    .uniform_work_group_size: 1
    .uses_dynamic_stack: false
    .vgpr_count:     16
    .vgpr_spill_count: 0
    .wavefront_size: 64
  - .agpr_count:     0
    .args:
      - .address_space:  global
        .offset:         0
        .size:           8
        .value_kind:     global_buffer
      - .address_space:  global
        .offset:         8
        .size:           8
        .value_kind:     global_buffer
      - .offset:         16
        .size:           4
        .value_kind:     by_value
      - .offset:         20
        .size:           4
        .value_kind:     by_value
      - .offset:         24
        .size:           4
        .value_kind:     by_value
      - .offset:         28
        .size:           4
        .value_kind:     by_value
      - .offset:         32
        .size:           4
        .value_kind:     by_value
      - .offset:         36
        .size:           4
        .value_kind:     by_value
      - .offset:         40
        .size:           4
        .value_kind:     by_value
      - .offset:         44
        .size:           4
        .value_kind:     by_value
    .group_segment_fixed_size: 4352
    .kernarg_segment_align: 8
    .kernarg_segment_size: 48
    .language:       OpenCL C
    .language_version:
      - 2
      - 0
    .max_flat_workgroup_size: 256
    .name:           batched_transpose_32x64_pack_2x4_ediv_2x2_half
    .private_segment_fixed_size: 0
    .sgpr_count:     41
    .sgpr_spill_count: 0
    .symbol:         batched_transpose_32x64_pack_2x4_ediv_2x2_half.kd
    .uniform_work_group_size: 1
    .uses_dynamic_stack: false
    .vgpr_count:     26
    .vgpr_spill_count: 0
    .wavefront_size: 64
  - .agpr_count:     0
    .args:
      - .address_space:  global
        .offset:         0
        .size:           8
        .value_kind:     global_buffer
      - .address_space:  global
        .offset:         8
        .size:           8
        .value_kind:     global_buffer
      - .offset:         16
        .size:           4
        .value_kind:     by_value
      - .offset:         20
        .size:           4
        .value_kind:     by_value
      - .offset:         24
        .size:           4
        .value_kind:     by_value
      - .offset:         28
        .size:           4
        .value_kind:     by_value
      - .offset:         32
        .size:           4
        .value_kind:     by_value
      - .offset:         36
        .size:           4
        .value_kind:     by_value
      - .offset:         40
        .size:           4
        .value_kind:     by_value
      - .offset:         44
        .size:           4
        .value_kind:     by_value
    .group_segment_fixed_size: 4352
    .kernarg_segment_align: 8
    .kernarg_segment_size: 48
    .language:       OpenCL C
    .language_version:
      - 2
      - 0
    .max_flat_workgroup_size: 256
    .name:           batched_transpose_32x64_pack_2x4_ediv_1x2_half
    .private_segment_fixed_size: 0
    .sgpr_count:     52
    .sgpr_spill_count: 0
    .symbol:         batched_transpose_32x64_pack_2x4_ediv_1x2_half.kd
    .uniform_work_group_size: 1
    .uses_dynamic_stack: false
    .vgpr_count:     21
    .vgpr_spill_count: 0
    .wavefront_size: 64
  - .agpr_count:     0
    .args:
      - .address_space:  global
        .offset:         0
        .size:           8
        .value_kind:     global_buffer
      - .address_space:  global
        .offset:         8
        .size:           8
        .value_kind:     global_buffer
      - .offset:         16
        .size:           4
        .value_kind:     by_value
      - .offset:         20
        .size:           4
        .value_kind:     by_value
      - .offset:         24
        .size:           4
        .value_kind:     by_value
      - .offset:         28
        .size:           4
        .value_kind:     by_value
      - .offset:         32
        .size:           4
        .value_kind:     by_value
      - .offset:         36
        .size:           4
        .value_kind:     by_value
      - .offset:         40
        .size:           4
        .value_kind:     by_value
      - .offset:         44
        .size:           4
        .value_kind:     by_value
    .group_segment_fixed_size: 2176
    .kernarg_segment_align: 8
    .kernarg_segment_size: 48
    .language:       OpenCL C
    .language_version:
      - 2
      - 0
    .max_flat_workgroup_size: 256
    .name:           batched_transpose_16x64_pack_1x4_ediv_1x2_half
    .private_segment_fixed_size: 0
    .sgpr_count:     40
    .sgpr_spill_count: 0
    .symbol:         batched_transpose_16x64_pack_1x4_ediv_1x2_half.kd
    .uniform_work_group_size: 1
    .uses_dynamic_stack: false
    .vgpr_count:     20
    .vgpr_spill_count: 0
    .wavefront_size: 64
  - .agpr_count:     0
    .args:
      - .address_space:  global
        .offset:         0
        .size:           8
        .value_kind:     global_buffer
      - .address_space:  global
        .offset:         8
        .size:           8
        .value_kind:     global_buffer
      - .offset:         16
        .size:           4
        .value_kind:     by_value
      - .offset:         20
        .size:           4
        .value_kind:     by_value
      - .offset:         24
        .size:           4
        .value_kind:     by_value
      - .offset:         28
        .size:           4
        .value_kind:     by_value
      - .offset:         32
        .size:           4
        .value_kind:     by_value
      - .offset:         36
        .size:           4
        .value_kind:     by_value
      - .offset:         40
        .size:           4
        .value_kind:     by_value
      - .offset:         44
        .size:           4
        .value_kind:     by_value
    .group_segment_fixed_size: 2176
    .kernarg_segment_align: 8
    .kernarg_segment_size: 48
    .language:       OpenCL C
    .language_version:
      - 2
      - 0
    .max_flat_workgroup_size: 256
    .name:           batched_transpose_64x16_pack_4x1_ediv_2x1_half
    .private_segment_fixed_size: 0
    .sgpr_count:     40
    .sgpr_spill_count: 0
    .symbol:         batched_transpose_64x16_pack_4x1_ediv_2x1_half.kd
    .uniform_work_group_size: 1
    .uses_dynamic_stack: false
    .vgpr_count:     21
    .vgpr_spill_count: 0
    .wavefront_size: 64
  - .agpr_count:     0
    .args:
      - .address_space:  global
        .offset:         0
        .size:           8
        .value_kind:     global_buffer
      - .address_space:  global
        .offset:         8
        .size:           8
        .value_kind:     global_buffer
      - .offset:         16
        .size:           4
        .value_kind:     by_value
      - .offset:         20
        .size:           4
        .value_kind:     by_value
      - .offset:         24
        .size:           4
        .value_kind:     by_value
      - .offset:         28
        .size:           4
        .value_kind:     by_value
      - .offset:         32
        .size:           4
        .value_kind:     by_value
      - .offset:         36
        .size:           4
        .value_kind:     by_value
      - .offset:         40
        .size:           4
        .value_kind:     by_value
      - .offset:         44
        .size:           4
        .value_kind:     by_value
    .group_segment_fixed_size: 8704
    .kernarg_segment_align: 8
    .kernarg_segment_size: 48
    .language:       OpenCL C
    .language_version:
      - 2
      - 0
    .max_flat_workgroup_size: 256
    .name:           batched_transpose_64x64_pack_4x4_ediv_4x4_half
    .private_segment_fixed_size: 0
    .sgpr_count:     48
    .sgpr_spill_count: 0
    .symbol:         batched_transpose_64x64_pack_4x4_ediv_4x4_half.kd
    .uniform_work_group_size: 1
    .uses_dynamic_stack: false
    .vgpr_count:     26
    .vgpr_spill_count: 0
    .wavefront_size: 64
  - .agpr_count:     0
    .args:
      - .address_space:  global
        .offset:         0
        .size:           8
        .value_kind:     global_buffer
      - .address_space:  global
        .offset:         8
        .size:           8
        .value_kind:     global_buffer
      - .offset:         16
        .size:           4
        .value_kind:     by_value
      - .offset:         20
        .size:           4
        .value_kind:     by_value
      - .offset:         24
        .size:           4
        .value_kind:     by_value
      - .offset:         28
        .size:           4
        .value_kind:     by_value
      - .offset:         32
        .size:           4
        .value_kind:     by_value
      - .offset:         36
        .size:           4
        .value_kind:     by_value
      - .offset:         40
        .size:           4
        .value_kind:     by_value
      - .offset:         44
        .size:           4
        .value_kind:     by_value
    .group_segment_fixed_size: 8704
    .kernarg_segment_align: 8
    .kernarg_segment_size: 48
    .language:       OpenCL C
    .language_version:
      - 2
      - 0
    .max_flat_workgroup_size: 256
    .name:           batched_transpose_64x64_pack_4x4_ediv_2x2_half
    .private_segment_fixed_size: 0
    .sgpr_count:     50
    .sgpr_spill_count: 0
    .symbol:         batched_transpose_64x64_pack_4x4_ediv_2x2_half.kd
    .uniform_work_group_size: 1
    .uses_dynamic_stack: false
    .vgpr_count:     34
    .vgpr_spill_count: 0
    .wavefront_size: 64
amdhsa.target:   amdgcn-amd-amdhsa--gfx90a
amdhsa.version:
  - 1
  - 2
...

	.end_amdgpu_metadata
